;; amdgpu-corpus repo=ROCm/rocFFT kind=compiled arch=gfx1201 opt=O3
	.text
	.amdgcn_target "amdgcn-amd-amdhsa--gfx1201"
	.amdhsa_code_object_version 6
	.protected	bluestein_single_back_len1694_dim1_half_op_CI_CI ; -- Begin function bluestein_single_back_len1694_dim1_half_op_CI_CI
	.globl	bluestein_single_back_len1694_dim1_half_op_CI_CI
	.p2align	8
	.type	bluestein_single_back_len1694_dim1_half_op_CI_CI,@function
bluestein_single_back_len1694_dim1_half_op_CI_CI: ; @bluestein_single_back_len1694_dim1_half_op_CI_CI
; %bb.0:
	s_load_b128 s[12:15], s[0:1], 0x28
	v_mul_u32_u24_e32 v1, 0x1aa, v0
	s_mov_b32 s2, exec_lo
	v_mov_b32_e32 v17, 0
	s_delay_alu instid0(VALU_DEP_2) | instskip(NEXT) | instid1(VALU_DEP_1)
	v_lshrrev_b32_e32 v1, 16, v1
	v_add_nc_u32_e32 v16, ttmp9, v1
	s_wait_kmcnt 0x0
	s_delay_alu instid0(VALU_DEP_1)
	v_cmpx_gt_u64_e64 s[12:13], v[16:17]
	s_cbranch_execz .LBB0_18
; %bb.1:
	s_clause 0x1
	s_load_b128 s[4:7], s[0:1], 0x18
	s_load_b128 s[8:11], s[0:1], 0x0
	v_mul_lo_u16 v1, 0x9a, v1
	s_delay_alu instid0(VALU_DEP_1) | instskip(NEXT) | instid1(VALU_DEP_1)
	v_sub_nc_u16 v10, v0, v1
	v_and_b32_e32 v54, 0xffff, v10
	s_wait_kmcnt 0x0
	s_load_b128 s[16:19], s[4:5], 0x0
	s_wait_kmcnt 0x0
	v_mad_co_u64_u32 v[0:1], null, s18, v16, 0
	v_mad_co_u64_u32 v[2:3], null, s16, v54, 0
	s_mul_u64 s[2:3], s[16:17], 0x268
	s_delay_alu instid0(VALU_DEP_1) | instskip(NEXT) | instid1(VALU_DEP_1)
	v_mad_co_u64_u32 v[4:5], null, s19, v16, v[1:2]
	v_mov_b32_e32 v1, v4
	s_delay_alu instid0(VALU_DEP_3) | instskip(SKIP_1) | instid1(VALU_DEP_3)
	v_mad_co_u64_u32 v[5:6], null, s17, v54, v[3:4]
	v_lshlrev_b32_e32 v37, 2, v54
	v_lshlrev_b64_e32 v[0:1], 2, v[0:1]
	s_delay_alu instid0(VALU_DEP_2) | instskip(SKIP_1) | instid1(VALU_DEP_3)
	v_dual_mov_b32 v3, v5 :: v_dual_add_nc_u32 v14, 0x900, v37
	v_add_nc_u32_e32 v15, 0xe00, v37
	v_add_co_u32 v0, vcc_lo, s14, v0
	s_delay_alu instid0(VALU_DEP_4) | instskip(NEXT) | instid1(VALU_DEP_4)
	v_add_co_ci_u32_e32 v1, vcc_lo, s15, v1, vcc_lo
	v_lshlrev_b64_e32 v[2:3], 2, v[2:3]
	v_add_nc_u32_e32 v17, 0x1200, v37
	s_delay_alu instid0(VALU_DEP_2) | instskip(SKIP_1) | instid1(VALU_DEP_3)
	v_add_co_u32 v0, vcc_lo, v0, v2
	s_wait_alu 0xfffd
	v_add_co_ci_u32_e32 v1, vcc_lo, v1, v3, vcc_lo
	s_delay_alu instid0(VALU_DEP_2) | instskip(SKIP_1) | instid1(VALU_DEP_2)
	v_add_co_u32 v2, vcc_lo, v0, s2
	s_wait_alu 0xfffd
	v_add_co_ci_u32_e32 v3, vcc_lo, s3, v1, vcc_lo
	s_clause 0x7
	global_load_b32 v57, v37, s[8:9]
	global_load_b32 v56, v37, s[8:9] offset:616
	global_load_b32 v55, v37, s[8:9] offset:1232
	;; [unrolled: 1-line block ×7, first 2 shown]
	global_load_b32 v4, v[0:1], off
	s_clause 0x1
	global_load_b32 v42, v37, s[8:9] offset:4928
	global_load_b32 v40, v37, s[8:9] offset:5544
	global_load_b32 v5, v[2:3], off
	v_add_co_u32 v0, vcc_lo, v2, s2
	s_wait_alu 0xfffd
	v_add_co_ci_u32_e32 v1, vcc_lo, s3, v3, vcc_lo
	global_load_b32 v38, v37, s[8:9] offset:6160
	v_add_co_u32 v2, vcc_lo, v0, s2
	s_wait_alu 0xfffd
	v_add_co_ci_u32_e32 v3, vcc_lo, s3, v1, vcc_lo
	global_load_b32 v6, v[0:1], off
	v_add_co_u32 v0, vcc_lo, v2, s2
	s_wait_alu 0xfffd
	v_add_co_ci_u32_e32 v1, vcc_lo, s3, v3, vcc_lo
	s_clause 0x1
	global_load_b32 v7, v[2:3], off
	global_load_b32 v8, v[0:1], off
	v_add_co_u32 v0, vcc_lo, v0, s2
	s_wait_alu 0xfffd
	v_add_co_ci_u32_e32 v1, vcc_lo, s3, v1, vcc_lo
	s_delay_alu instid0(VALU_DEP_2) | instskip(SKIP_1) | instid1(VALU_DEP_2)
	v_add_co_u32 v2, vcc_lo, v0, s2
	s_wait_alu 0xfffd
	v_add_co_ci_u32_e32 v3, vcc_lo, s3, v1, vcc_lo
	global_load_b32 v9, v[0:1], off
	v_add_co_u32 v0, vcc_lo, v2, s2
	s_wait_alu 0xfffd
	v_add_co_ci_u32_e32 v1, vcc_lo, s3, v3, vcc_lo
	global_load_b32 v11, v[2:3], off
	;; [unrolled: 4-line block ×5, first 2 shown]
	global_load_b32 v1, v[2:3], off
	v_add_nc_u32_e32 v2, 0x400, v37
	s_load_b128 s[4:7], s[6:7], 0x0
	s_load_b64 s[2:3], s[0:1], 0x38
	v_cmp_gt_u16_e32 vcc_lo, 0x4d, v10
	s_wait_loadcnt 0x15
	v_lshrrev_b32_e32 v60, 16, v57
	s_wait_loadcnt 0x14
	v_lshrrev_b32_e32 v59, 16, v56
	;; [unrolled: 2-line block ×9, first 2 shown]
	v_mul_f16_e32 v18, v60, v4
	s_wait_loadcnt 0xc
	v_lshrrev_b32_e32 v43, 16, v42
	s_wait_loadcnt 0xa
	v_lshrrev_b32_e32 v20, 16, v5
	v_mul_f16_e32 v21, v59, v5
	v_mul_f16_e32 v19, v60, v3
	v_fma_f16 v3, v57, v3, -v18
	v_lshrrev_b32_e32 v41, 16, v40
	s_wait_loadcnt 0x9
	v_lshrrev_b32_e32 v39, 16, v38
	v_fmac_f16_e32 v19, v57, v4
	v_mul_f16_e32 v4, v59, v20
	v_fma_f16 v20, v56, v20, -v21
	s_wait_loadcnt 0x8
	v_lshrrev_b32_e32 v18, 16, v6
	v_mul_f16_e32 v21, v58, v6
	v_pack_b32_f16 v3, v19, v3
	v_fmac_f16_e32 v4, v56, v5
	s_delay_alu instid0(VALU_DEP_4)
	v_mul_f16_e32 v5, v58, v18
	s_wait_loadcnt 0x7
	v_lshrrev_b32_e32 v19, 16, v7
	v_fma_f16 v18, v55, v18, -v21
	v_pack_b32_f16 v4, v4, v20
	s_wait_loadcnt 0x6
	v_lshrrev_b32_e32 v20, 16, v8
	v_fmac_f16_e32 v5, v55, v6
	v_mul_f16_e32 v22, v53, v7
	v_mul_f16_e32 v6, v53, v19
	ds_store_2addr_b32 v37, v3, v4 offset1:154
	v_mul_f16_e32 v4, v51, v20
	v_pack_b32_f16 v3, v5, v18
	v_fma_f16 v19, v52, v19, -v22
	s_wait_loadcnt 0x5
	v_lshrrev_b32_e32 v5, 16, v9
	v_mul_f16_e32 v21, v51, v8
	v_fmac_f16_e32 v6, v52, v7
	v_mul_f16_e32 v7, v49, v9
	v_fmac_f16_e32 v4, v50, v8
	v_mul_f16_e32 v8, v49, v5
	v_fma_f16 v18, v50, v20, -v21
	v_pack_b32_f16 v6, v6, v19
	v_fma_f16 v5, v48, v5, -v7
	s_wait_loadcnt 0x4
	v_lshrrev_b32_e32 v7, 16, v11
	v_mul_f16_e32 v19, v47, v11
	v_fmac_f16_e32 v8, v48, v9
	s_wait_loadcnt 0x3
	v_lshrrev_b32_e32 v9, 16, v12
	v_pack_b32_f16 v4, v4, v18
	v_mul_f16_e32 v18, v47, v7
	v_fma_f16 v7, v46, v7, -v19
	v_mul_f16_e32 v19, v45, v12
	v_pack_b32_f16 v5, v8, v5
	v_mul_f16_e32 v8, v45, v9
	v_fmac_f16_e32 v18, v46, v11
	s_wait_loadcnt 0x2
	v_lshrrev_b32_e32 v11, 16, v13
	v_fma_f16 v9, v44, v9, -v19
	v_mul_f16_e32 v19, v43, v13
	v_fmac_f16_e32 v8, v44, v12
	s_wait_loadcnt 0x1
	v_lshrrev_b32_e32 v12, 16, v0
	s_wait_loadcnt 0x0
	v_lshrrev_b32_e32 v21, 16, v1
	v_mul_f16_e32 v20, v43, v11
	v_fma_f16 v11, v42, v11, -v19
	v_mul_f16_e32 v19, v41, v0
	v_mul_f16_e32 v22, v41, v12
	;; [unrolled: 1-line block ×4, first 2 shown]
	v_fmac_f16_e32 v20, v42, v13
	v_fma_f16 v12, v40, v12, -v19
	v_fmac_f16_e32 v22, v40, v0
	v_fma_f16 v0, v38, v21, -v23
	v_fmac_f16_e32 v24, v38, v1
	v_pack_b32_f16 v1, v18, v7
	v_pack_b32_f16 v7, v8, v9
	;; [unrolled: 1-line block ×5, first 2 shown]
	ds_store_2addr_b32 v2, v3, v6 offset0:52 offset1:206
	ds_store_2addr_b32 v14, v4, v5 offset0:40 offset1:194
	;; [unrolled: 1-line block ×4, first 2 shown]
	ds_store_b32 v37, v0 offset:6160
	v_mul_lo_u16 v8, v10, 11
	global_wb scope:SCOPE_SE
	s_wait_dscnt 0x0
	s_wait_kmcnt 0x0
	s_barrier_signal -1
	s_barrier_wait -1
	global_inv scope:SCOPE_SE
	ds_load_2addr_b32 v[0:1], v37 offset1:154
	ds_load_b32 v3, v37 offset:6160
	ds_load_2addr_b32 v[4:5], v2 offset0:52 offset1:206
	ds_load_2addr_b32 v[6:7], v17 offset0:80 offset1:234
	v_and_b32_e32 v13, 0xffff, v8
	ds_load_2addr_b32 v[8:9], v14 offset0:40 offset1:194
	ds_load_2addr_b32 v[11:12], v15 offset0:28 offset1:182
	v_add_nc_u32_e32 v14, 0xf00, v37
	v_add_nc_u32_e32 v15, 0x1400, v37
	global_wb scope:SCOPE_SE
	s_wait_dscnt 0x0
	v_lshlrev_b32_e32 v61, 2, v13
	v_add_nc_u32_e32 v13, 0x980, v37
	s_barrier_signal -1
	s_barrier_wait -1
	global_inv scope:SCOPE_SE
                                        ; implicit-def: $vgpr10
	v_pk_add_f16 v17, v0, v1
	v_pk_add_f16 v18, v3, v1
	v_pk_add_f16 v1, v1, v3 neg_lo:[0,1] neg_hi:[0,1]
	v_pk_add_f16 v21, v7, v4
	v_pk_add_f16 v22, v4, v7 neg_lo:[0,1] neg_hi:[0,1]
	;; [unrolled: 2-line block ×4, first 2 shown]
	v_pk_add_f16 v4, v17, v4
	v_lshrrev_b32_e32 v17, 16, v1
	v_pk_mul_f16 v29, 0x3abb36a6, v18
	v_lshrrev_b32_e32 v30, 16, v18
	v_mul_f16_e32 v31, 0xbb47, v1
	v_mul_f16_e32 v32, 0xbbeb, v1
	v_mul_f16_e32 v33, 0xba0c, v1
	v_lshrrev_b32_e32 v34, 16, v22
	v_pk_mul_f16 v35, 0x36a6b93d, v21
	v_lshrrev_b32_e32 v36, 16, v21
	v_mul_f16_e32 v62, 0xba0c, v22
	v_mul_f16_e32 v63, 0x3482, v22
	v_mul_f16_e32 v64, 0x3beb, v22
	;; [unrolled: 6-line block ×3, first 2 shown]
	v_lshrrev_b32_e32 v71, 16, v25
	v_mul_f16_e32 v72, 0x3beb, v26
	v_mul_f16_e32 v73, 0xb853, v26
	v_mul_f16_e32 v74, 0xb482, v26
	v_pk_mul_f16 v75, 0xbbad, v18 op_sel_hi:[0,1]
	v_pk_mul_f16 v76, 0x3abb, v21 op_sel_hi:[0,1]
	;; [unrolled: 1-line block ×3, first 2 shown]
	v_pk_mul_f16 v78, 0xb93db08e, v25
	v_pk_mul_f16 v79, 0x36a6, v25 op_sel_hi:[0,1]
	v_lshrrev_b32_e32 v80, 16, v26
	v_lshrrev_b32_e32 v20, 16, v0
	v_pk_add_f16 v28, v9, v11 neg_lo:[0,1] neg_hi:[0,1]
	v_pk_add_f16 v4, v4, v5
	v_mul_f16_e32 v5, 0xb853, v17
	v_pk_fma_f16 v89, 0xbb47b853, v1, v29 op_sel:[0,0,1] op_sel_hi:[1,1,0] neg_lo:[0,1,0] neg_hi:[0,1,0]
	v_pk_fma_f16 v29, 0xbb47b853, v1, v29 op_sel:[0,0,1] op_sel_hi:[1,1,0]
	v_fmamk_f16 v90, v30, 0x36a6, v31
	v_fma_f16 v31, v30, 0x36a6, -v31
	v_mul_f16_e32 v91, 0xbbeb, v17
	v_fmamk_f16 v92, v30, 0xb08e, v32
	v_fma_f16 v32, v30, 0xb08e, -v32
	v_mul_f16_e32 v17, 0xba0c, v17
	;; [unrolled: 3-line block ×3, first 2 shown]
	v_pk_fma_f16 v94, 0xba0cbb47, v22, v35 op_sel:[0,0,1] op_sel_hi:[1,1,0] neg_lo:[0,1,0] neg_hi:[0,1,0]
	v_pk_fma_f16 v35, 0xba0cbb47, v22, v35 op_sel:[0,0,1] op_sel_hi:[1,1,0]
	v_fmamk_f16 v95, v36, 0xb93d, v62
	v_fma_f16 v62, v36, 0xb93d, -v62
	v_mul_f16_e32 v96, 0x3482, v34
	v_fmamk_f16 v97, v36, 0xbbad, v63
	v_fma_f16 v63, v36, 0xbbad, -v63
	v_mul_f16_e32 v34, 0x3beb, v34
	;; [unrolled: 3-line block ×3, first 2 shown]
	v_pk_fma_f16 v99, 0x3482bbeb, v24, v66 op_sel:[0,0,1] op_sel_hi:[1,1,0] neg_lo:[0,1,0] neg_hi:[0,1,0]
	v_pk_fma_f16 v66, 0x3482bbeb, v24, v66 op_sel:[0,0,1] op_sel_hi:[1,1,0]
	v_fmamk_f16 v100, v67, 0xbbad, v68
	v_fma_f16 v68, v67, 0xbbad, -v68
	v_fmamk_f16 v101, v67, 0x36a6, v69
	v_fma_f16 v69, v67, 0x36a6, -v69
	;; [unrolled: 2-line block ×4, first 2 shown]
	v_pk_fma_f16 v103, 0xb482, v1, v75 op_sel:[0,0,1] op_sel_hi:[0,1,0] neg_lo:[0,1,0] neg_hi:[0,1,0]
	v_pk_fma_f16 v1, 0xb482, v1, v75 op_sel:[0,0,1] op_sel_hi:[0,1,0]
	v_fmamk_f16 v75, v71, 0x3abb, v73
	v_fma_f16 v73, v71, 0x3abb, -v73
	v_fmamk_f16 v104, v71, 0xbbad, v74
	v_fma_f16 v71, v71, 0xbbad, -v74
	v_pk_fma_f16 v74, 0x3853, v22, v76 op_sel:[0,0,1] op_sel_hi:[0,1,0] neg_lo:[0,1,0] neg_hi:[0,1,0]
	v_pk_fma_f16 v22, 0x3853, v22, v76 op_sel:[0,0,1] op_sel_hi:[0,1,0]
	v_pk_fma_f16 v76, 0xba0c, v24, v77 op_sel:[0,0,1] op_sel_hi:[0,1,0] neg_lo:[0,1,0] neg_hi:[0,1,0]
	v_pk_fma_f16 v24, 0xba0c, v24, v77 op_sel:[0,0,1] op_sel_hi:[0,1,0]
	v_mul_f16_e32 v77, 0x3b47, v65
	v_mul_f16_e32 v65, 0xb853, v65
	v_pk_fma_f16 v105, 0x3bebba0c, v26, v78 op_sel:[0,0,1] op_sel_hi:[1,1,0] neg_lo:[0,1,0] neg_hi:[0,1,0]
	v_pk_fma_f16 v78, 0x3bebba0c, v26, v78 op_sel:[0,0,1] op_sel_hi:[1,1,0]
	v_pk_fma_f16 v106, 0x3b47, v26, v79 op_sel:[0,0,1] op_sel_hi:[0,1,0] neg_lo:[0,1,0] neg_hi:[0,1,0]
	v_pk_fma_f16 v26, 0x3b47, v26, v79 op_sel:[0,0,1] op_sel_hi:[0,1,0]
	v_mul_f16_e32 v79, 0xba0c, v80
	v_mul_f16_e32 v107, 0xb853, v80
	;; [unrolled: 1-line block ×3, first 2 shown]
	v_pk_add_f16 v27, v11, v9
	v_lshrrev_b32_e32 v81, 16, v28
	v_pk_add_f16 v4, v4, v8
	v_fma_f16 v8, v18, 0x3abb, -v5
	v_fmac_f16_e32 v5, 0x3abb, v18
	v_bfi_b32 v115, 0xffff, v29, v89
	v_alignbit_b32 v29, s0, v29, 16
	v_fma_f16 v116, v18, 0xb08e, -v91
	v_fmac_f16_e32 v91, 0xb08e, v18
	v_fma_f16 v117, v18, 0xb93d, -v17
	v_fmac_f16_e32 v17, 0xb93d, v18
	v_alignbit_b32 v18, s0, v103, 16
	v_fma_f16 v118, v21, 0x36a6, -v33
	v_fmac_f16_e32 v33, 0x36a6, v21
	v_fma_f16 v119, v21, 0xbbad, -v96
	v_fmac_f16_e32 v96, 0xbbad, v21
	;; [unrolled: 2-line block ×9, first 2 shown]
	v_add_f16_e32 v25, v20, v90
	v_add_f16_e32 v31, v20, v31
	;; [unrolled: 1-line block ×7, first 2 shown]
	v_alignbit_b32 v19, s0, v0, 16
	v_lshrrev_b32_e32 v83, 16, v27
	v_mul_f16_e32 v84, 0x3853, v28
	v_mul_f16_e32 v86, 0x3b47, v28
	;; [unrolled: 1-line block ×5, first 2 shown]
	v_pk_add_f16 v1, v0, v1 op_sel:[1,0] op_sel_hi:[0,1]
	v_bfi_b32 v89, 0xffff, v35, v94
	v_alignbit_b32 v35, s0, v35, 16
	v_pk_add_f16 v4, v4, v9
	v_add_f16_e32 v8, v0, v8
	v_add_f16_e32 v5, v0, v5
	v_pk_add_f16 v9, v0, v115 op_sel:[1,0] op_sel_hi:[0,1]
	v_pk_add_f16 v29, v0, v29
	v_add_f16_e32 v115, v0, v116
	v_add_f16_e32 v91, v0, v91
	;; [unrolled: 1-line block ×4, first 2 shown]
	v_pk_add_f16 v0, v0, v18
	v_add_f16_e32 v18, v95, v25
	v_add_f16_e32 v25, v62, v31
	;; [unrolled: 1-line block ×4, first 2 shown]
	v_pk_mul_f16 v82, 0xbbad3abb, v27
	v_mul_f16_e32 v85, 0xba0c, v28
	v_pk_mul_f16 v87, 0xb08e, v27 op_sel_hi:[0,1]
	v_fmamk_f16 v111, v83, 0x3abb, v84
	v_fma_f16 v84, v83, 0x3abb, -v84
	v_fmamk_f16 v112, v83, 0x36a6, v86
	v_fma_f16 v86, v83, 0x36a6, -v86
	v_mul_f16_e32 v83, 0xb93d, v83
	v_pk_add_f16 v19, v19, v103
	v_fma_f16 v103, v27, 0xbbad, -v108
	v_fmac_f16_e32 v108, 0xbbad, v27
	v_fma_f16 v125, v27, 0xb93d, -v109
	v_fmac_f16_e32 v109, 0xb93d, v27
	;; [unrolled: 2-line block ×3, first 2 shown]
	v_bfi_b32 v27, 0xffff, v66, v99
	v_alignbit_b32 v66, s0, v66, 16
	v_pk_add_f16 v1, v22, v1
	v_pk_add_f16 v4, v4, v11
	v_add_f16_e32 v8, v118, v8
	v_add_f16_e32 v5, v33, v5
	v_pk_add_f16 v9, v89, v9
	v_pk_add_f16 v11, v35, v29
	v_add_f16_e32 v22, v119, v115
	v_add_f16_e32 v29, v96, v91
	;; [unrolled: 1-line block ×6, first 2 shown]
	v_pk_fma_f16 v110, 0x3853b482, v28, v82 op_sel:[0,0,1] op_sel_hi:[1,1,0] neg_lo:[0,1,0] neg_hi:[0,1,0]
	v_pk_fma_f16 v113, 0x3853b482, v28, v82 op_sel:[0,0,1] op_sel_hi:[1,1,0]
	v_alignbit_b32 v93, s0, v74, 16
	v_pk_mul_f16 v88, 0x3853b482, v28
	v_pk_fma_f16 v114, 0xbbeb, v28, v87 op_sel:[0,0,1] op_sel_hi:[0,1,0] neg_lo:[0,1,0] neg_hi:[0,1,0]
	v_pk_fma_f16 v87, 0xbbeb, v28, v87 op_sel:[0,0,1] op_sel_hi:[0,1,0]
	v_pack_b32_f16 v73, v73, v82
	v_pk_add_f16 v82, v83, v85 neg_lo:[0,1] neg_hi:[0,1]
	v_fmamk_f16 v28, v28, 0xba0c, v83
	v_bfi_b32 v83, 0xffff, v78, v105
	v_add_f16_e32 v31, v97, v90
	v_add_f16_e32 v32, v63, v32
	;; [unrolled: 1-line block ×4, first 2 shown]
	v_pk_add_f16 v1, v24, v1
	v_pk_add_f16 v4, v4, v12
	v_add_f16_e32 v8, v21, v8
	v_add_f16_e32 v5, v64, v5
	v_pk_add_f16 v9, v27, v9
	v_pk_add_f16 v12, v66, v11
	v_add_f16_e32 v11, v121, v22
	v_add_f16_e32 v21, v77, v29
	;; [unrolled: 1-line block ×5, first 2 shown]
	v_bfi_b32 v85, 0xffff, v113, v110
	v_alignbit_b32 v113, s0, v76, 16
	v_pk_add_f16 v19, v74, v19
	v_pk_add_f16 v0, v93, v0
	v_add_f16_e32 v18, v100, v18
	v_add_f16_e32 v31, v101, v31
	;; [unrolled: 1-line block ×6, first 2 shown]
	v_pk_add_f16 v4, v4, v6
	v_add_f16_e32 v6, v23, v8
	v_add_f16_e32 v5, v79, v5
	v_pk_add_f16 v8, v83, v9
	v_add_f16_e32 v9, v123, v11
	v_add_f16_e32 v21, v107, v21
	;; [unrolled: 1-line block ×5, first 2 shown]
	v_lshlrev_b32_e32 v27, 16, v12
	v_alignbit_b32 v127, s0, v106, 16
	v_pk_add_f16 v19, v76, v19
	v_pk_add_f16 v0, v113, v0
	v_add_f16_e32 v18, v70, v18
	v_add_f16_e32 v25, v75, v31
	;; [unrolled: 1-line block ×3, first 2 shown]
	v_pk_add_f16 v1, v26, v1
	v_bfi_b32 v26, 0xffff, v32, v88
	v_add_f16_e32 v22, v124, v22
	v_add_f16_e32 v17, v80, v17
	v_pk_add_f16 v4, v4, v7
	v_add_f16_e32 v12, v108, v5
	v_pk_add_f16 v5, v85, v8
	;; [unrolled: 2-line block ×3, first 2 shown]
	v_alignbit_b32 v128, s0, v114, 16
	v_pk_add_f16 v19, v106, v19
	v_pk_add_f16 v0, v127, v0
	v_add_f16_e32 v18, v111, v18
	v_add_f16_e32 v23, v28, v25
	;; [unrolled: 1-line block ×3, first 2 shown]
	v_pk_add_f16 v26, v73, v26
	v_add_f16_e32 v6, v103, v6
	v_add_f16_e32 v7, v125, v9
	;; [unrolled: 1-line block ×4, first 2 shown]
	v_pk_add_f16 v3, v4, v3
	v_bfi_b32 v4, 0xffff, v82, v21
	v_pk_add_f16 v1, v87, v1
	v_pk_add_f16 v19, v114, v19
	;; [unrolled: 1-line block ×3, first 2 shown]
	v_alignbit_b32 v18, v18, v5, 16
	v_pack_b32_f16 v5, v6, v5
	v_pack_b32_f16 v6, v9, v24
	;; [unrolled: 1-line block ×3, first 2 shown]
	v_pk_add_f16 v4, v4, v26
	v_pack_b32_f16 v17, v12, v11
	v_pack_b32_f16 v7, v7, v23
	v_alignbit_b32 v19, v19, v1, 16
	v_pack_b32_f16 v0, v0, v1
	ds_store_2addr_b32 v61, v3, v9 offset1:7
	v_alignbit_b32 v1, v20, v4, 16
	v_pack_b32_f16 v3, v8, v4
	ds_store_b32 v61, v17 offset:40
	ds_store_2addr_b32 v61, v5, v18 offset0:1 offset1:2
	ds_store_2addr_b32 v61, v7, v6 offset0:3 offset1:4
	;; [unrolled: 1-line block ×4, first 2 shown]
	global_wb scope:SCOPE_SE
	s_wait_dscnt 0x0
	s_barrier_signal -1
	s_barrier_wait -1
	global_inv scope:SCOPE_SE
	ds_load_2addr_b32 v[4:5], v37 offset1:154
	ds_load_2addr_b32 v[0:1], v13 offset0:8 offset1:239
	ds_load_2addr_b32 v[8:9], v14 offset0:41 offset1:195
	;; [unrolled: 1-line block ×4, first 2 shown]
                                        ; implicit-def: $vgpr13
	s_and_saveexec_b32 s0, vcc_lo
	s_cbranch_execz .LBB0_3
; %bb.2:
	ds_load_b32 v12, v37 offset:3080
	ds_load_b32 v10, v37 offset:6468
	s_wait_dscnt 0x1
	v_lshrrev_b32_e32 v11, 16, v12
	s_wait_dscnt 0x0
	v_lshrrev_b32_e32 v13, 16, v10
.LBB0_3:
	s_wait_alu 0xfffe
	s_or_b32 exec_lo, exec_lo, s0
	v_and_b32_e32 v14, 0xff, v54
	v_add_co_u32 v15, null, 0x134, v54
	v_add_co_u32 v82, null, 0x9a, v54
	s_delay_alu instid0(VALU_DEP_3) | instskip(SKIP_2) | instid1(VALU_DEP_3)
	v_mul_lo_u16 v14, 0x75, v14
	v_add_co_u32 v17, null, 0x1ce, v54
	v_add_co_u32 v18, null, 0x268, v54
	v_lshrrev_b16 v14, 8, v14
	v_add_nc_u16 v20, v54, 0x302
	v_and_b32_e32 v22, 0xffff, v15
	v_and_b32_e32 v21, 0xffff, v82
	;; [unrolled: 1-line block ×3, first 2 shown]
	v_sub_nc_u16 v19, v54, v14
	v_and_b32_e32 v24, 0xffff, v18
	v_and_b32_e32 v25, 0xffff, v20
	v_mul_u32_u24_e32 v22, 0xba2f, v22
	v_mul_u32_u24_e32 v21, 0xba2f, v21
	v_lshrrev_b16 v19, 1, v19
	v_mul_u32_u24_e32 v23, 0xba2f, v23
	v_mul_u32_u24_e32 v24, 0xba2f, v24
	;; [unrolled: 1-line block ×3, first 2 shown]
	v_lshrrev_b32_e32 v21, 19, v21
	v_and_b32_e32 v19, 0x7f, v19
	s_wait_dscnt 0x0
	v_lshrrev_b32_e32 v32, 16, v6
	v_lshrrev_b32_e32 v34, 16, v7
	;; [unrolled: 1-line block ×4, first 2 shown]
	v_add_nc_u16 v14, v19, v14
	v_lshrrev_b32_e32 v19, 19, v22
	v_lshrrev_b32_e32 v22, 19, v23
	;; [unrolled: 1-line block ×3, first 2 shown]
	v_mul_lo_u16 v24, v21, 11
	v_lshrrev_b16 v14, 3, v14
	v_mul_lo_u16 v25, v19, 11
	v_mul_lo_u16 v26, v22, 11
	;; [unrolled: 1-line block ×5, first 2 shown]
	v_sub_nc_u16 v15, v15, v25
	v_sub_nc_u16 v24, v82, v24
	;; [unrolled: 1-line block ×6, first 2 shown]
	v_and_b32_e32 v20, 0xffff, v24
	v_and_b32_e32 v26, 0xffff, v15
	;; [unrolled: 1-line block ×6, first 2 shown]
	v_lshlrev_b32_e32 v20, 2, v20
	v_lshlrev_b32_e32 v26, 2, v26
	;; [unrolled: 1-line block ×6, first 2 shown]
	v_mad_u16 v15, v19, 22, v15
	s_clause 0x5
	global_load_b32 v73, v30, s[10:11]
	global_load_b32 v68, v20, s[10:11]
	;; [unrolled: 1-line block ×6, first 2 shown]
	v_and_b32_e32 v14, 0xffff, v14
	v_mad_u16 v17, v22, 22, v17
	v_mad_u16 v18, v23, 22, v18
	;; [unrolled: 1-line block ×3, first 2 shown]
	v_lshrrev_b32_e32 v26, 16, v1
	v_and_b32_e32 v15, 0xffff, v15
	v_mul_u32_u24_e32 v14, 22, v14
	v_lshrrev_b32_e32 v28, 16, v8
	v_and_b32_e32 v17, 0xffff, v17
	v_and_b32_e32 v18, 0xffff, v18
	v_lshrrev_b32_e32 v30, 16, v9
	v_and_b32_e32 v19, 0xffff, v21
	v_lshlrev_b32_e32 v70, 2, v15
	v_add_lshl_u32 v74, v14, v25, 2
	v_lshlrev_b32_e32 v71, 2, v17
	v_lshlrev_b32_e32 v72, 2, v18
	;; [unrolled: 1-line block ×3, first 2 shown]
	v_lshrrev_b32_e32 v20, 16, v4
	v_lshrrev_b32_e32 v27, 16, v5
	;; [unrolled: 1-line block ×4, first 2 shown]
	global_wb scope:SCOPE_SE
	s_wait_loadcnt 0x0
	s_barrier_signal -1
	s_barrier_wait -1
	global_inv scope:SCOPE_SE
	v_lshrrev_b32_e32 v80, 16, v73
	v_lshrrev_b32_e32 v79, 16, v68
	;; [unrolled: 1-line block ×6, first 2 shown]
	v_mul_f16_e32 v14, v26, v80
	v_mul_f16_e32 v15, v1, v80
	;; [unrolled: 1-line block ×12, first 2 shown]
	v_fma_f16 v1, v1, v73, -v14
	v_fmac_f16_e32 v15, v26, v73
	v_fma_f16 v8, v8, v68, -v17
	v_fmac_f16_e32 v18, v28, v68
	;; [unrolled: 2-line block ×6, first 2 shown]
	v_sub_f16_e32 v1, v4, v1
	v_sub_f16_e32 v13, v20, v15
	;; [unrolled: 1-line block ×11, first 2 shown]
	v_fma_f16 v4, v4, 2.0, -v1
	v_fma_f16 v10, v20, 2.0, -v13
	;; [unrolled: 1-line block ×10, first 2 shown]
	v_sub_f16_e32 v97, v11, v36
	v_pack_b32_f16 v1, v1, v13
	v_pack_b32_f16 v4, v4, v10
	v_pack_b32_f16 v8, v8, v14
	v_pack_b32_f16 v5, v5, v19
	v_pack_b32_f16 v9, v9, v15
	v_pack_b32_f16 v2, v2, v20
	v_pack_b32_f16 v6, v6, v17
	v_pack_b32_f16 v3, v3, v21
	v_pack_b32_f16 v7, v7, v18
	v_pack_b32_f16 v0, v0, v22
	ds_store_2addr_b32 v74, v4, v1 offset1:11
	ds_store_2addr_b32 v69, v5, v8 offset1:11
	;; [unrolled: 1-line block ×5, first 2 shown]
	s_and_saveexec_b32 s0, vcc_lo
	s_cbranch_execz .LBB0_5
; %bb.4:
	v_mad_u16 v0, v62, 22, v63
	v_fma_f16 v1, v12, 2.0, -v23
	v_fma_f16 v2, v11, 2.0, -v97
	s_delay_alu instid0(VALU_DEP_3) | instskip(NEXT) | instid1(VALU_DEP_2)
	v_and_b32_e32 v0, 0xffff, v0
	v_pack_b32_f16 v1, v1, v2
	v_perm_b32 v2, v97, v23, 0x5040100
	s_delay_alu instid0(VALU_DEP_3)
	v_lshlrev_b32_e32 v0, 2, v0
	ds_store_2addr_b32 v0, v1, v2 offset1:11
.LBB0_5:
	s_wait_alu 0xfffe
	s_or_b32 exec_lo, exec_lo, s0
	v_lshrrev_b16 v0, 1, v54
	global_wb scope:SCOPE_SE
	s_wait_dscnt 0x0
	s_barrier_signal -1
	s_barrier_wait -1
	global_inv scope:SCOPE_SE
	v_and_b32_e32 v0, 0x7f, v0
	v_add_nc_u32_e32 v10, 0x400, v37
	v_add_nc_u32_e32 v11, 0x900, v37
	;; [unrolled: 1-line block ×4, first 2 shown]
	v_mul_lo_u16 v0, 0xbb, v0
	v_add_nc_u32_e32 v107, 0xf00, v37
	s_delay_alu instid0(VALU_DEP_2) | instskip(NEXT) | instid1(VALU_DEP_1)
	v_lshrrev_b16 v22, 11, v0
	v_mul_lo_u16 v0, v22, 22
	v_and_b32_e32 v22, 0xffff, v22
	s_delay_alu instid0(VALU_DEP_2) | instskip(NEXT) | instid1(VALU_DEP_2)
	v_sub_nc_u16 v0, v54, v0
	v_mul_u32_u24_e32 v22, 0xf2, v22
	s_delay_alu instid0(VALU_DEP_2) | instskip(NEXT) | instid1(VALU_DEP_1)
	v_and_b32_e32 v21, 0xff, v0
	v_mad_co_u64_u32 v[8:9], null, v21, 40, s[10:11]
	s_delay_alu instid0(VALU_DEP_3)
	v_add_lshl_u32 v81, v22, v21, 2
	s_clause 0x2
	global_load_b128 v[4:7], v[8:9], off offset:44
	global_load_b128 v[0:3], v[8:9], off offset:60
	global_load_b64 v[17:18], v[8:9], off offset:76
	ds_load_2addr_b32 v[8:9], v37 offset1:154
	ds_load_2addr_b32 v[19:20], v10 offset0:52 offset1:206
	v_add_nc_u32_e32 v10, 0x1200, v37
	ds_load_b32 v24, v37 offset:6160
	ds_load_2addr_b32 v[14:15], v11 offset0:40 offset1:194
	ds_load_2addr_b32 v[12:13], v12 offset0:28 offset1:182
	;; [unrolled: 1-line block ×3, first 2 shown]
	global_wb scope:SCOPE_SE
	s_wait_loadcnt_dscnt 0x0
	s_barrier_signal -1
	s_barrier_wait -1
	global_inv scope:SCOPE_SE
	v_lshrrev_b32_e32 v26, 16, v9
	v_lshrrev_b32_e32 v28, 16, v19
	;; [unrolled: 1-line block ×16, first 2 shown]
	v_mul_f16_e32 v21, v26, v104
	v_mul_f16_e32 v22, v9, v104
	v_lshrrev_b32_e32 v98, 16, v0
	v_lshrrev_b32_e32 v94, 16, v3
	v_mul_f16_e32 v36, v28, v101
	v_mul_f16_e32 v83, v19, v101
	;; [unrolled: 1-line block ×4, first 2 shown]
	v_fma_f16 v9, v9, v4, -v21
	v_fmac_f16_e32 v22, v26, v4
	v_lshrrev_b32_e32 v99, 16, v7
	v_lshrrev_b32_e32 v96, 16, v1
	;; [unrolled: 1-line block ×3, first 2 shown]
	v_mul_f16_e32 v112, v24, v93
	v_mul_f16_e32 v84, v29, v100
	;; [unrolled: 1-line block ×6, first 2 shown]
	v_fma_f16 v19, v19, v5, -v36
	v_fmac_f16_e32 v83, v28, v5
	v_fma_f16 v11, v11, v17, -v109
	v_fma_f16 v21, v24, v18, -v111
	v_add_f16_e32 v24, v8, v9
	v_add_f16_e32 v26, v25, v22
	v_mul_f16_e32 v86, v30, v99
	v_mul_f16_e32 v87, v14, v99
	v_mul_f16_e32 v88, v31, v98
	v_mul_f16_e32 v90, v32, v96
	v_mul_f16_e32 v91, v12, v96
	v_mul_f16_e32 v102, v33, v95
	v_mul_f16_e32 v103, v13, v95
	v_mul_f16_e32 v108, v10, v94
	v_fmac_f16_e32 v112, v27, v18
	v_fma_f16 v20, v20, v6, -v84
	v_fmac_f16_e32 v85, v29, v6
	v_fmac_f16_e32 v89, v31, v0
	v_fma_f16 v10, v10, v3, -v105
	v_add_f16_e32 v29, v19, v11
	v_sub_f16_e32 v31, v19, v11
	v_add_f16_e32 v19, v24, v19
	v_add_f16_e32 v24, v26, v83
	v_fma_f16 v14, v14, v7, -v86
	v_fmac_f16_e32 v87, v30, v7
	v_fma_f16 v15, v15, v0, -v88
	v_fma_f16 v12, v12, v1, -v90
	v_fmac_f16_e32 v91, v32, v1
	v_fma_f16 v13, v13, v2, -v102
	v_fmac_f16_e32 v103, v33, v2
	v_fmac_f16_e32 v108, v34, v3
	;; [unrolled: 1-line block ×3, first 2 shown]
	v_add_f16_e32 v27, v9, v21
	v_add_f16_e32 v28, v22, v112
	v_sub_f16_e32 v9, v9, v21
	v_sub_f16_e32 v22, v22, v112
	v_add_f16_e32 v33, v20, v10
	v_sub_f16_e32 v35, v20, v10
	v_add_f16_e32 v19, v19, v20
	v_add_f16_e32 v20, v24, v85
	;; [unrolled: 1-line block ×3, first 2 shown]
	v_sub_f16_e32 v32, v83, v110
	v_sub_f16_e32 v36, v85, v108
	;; [unrolled: 1-line block ×6, first 2 shown]
	v_mul_f16_e32 v26, 0xb853, v22
	v_mul_f16_e32 v83, 0xb853, v9
	;; [unrolled: 1-line block ×10, first 2 shown]
	v_add_f16_e32 v84, v14, v13
	v_add_f16_e32 v14, v19, v14
	;; [unrolled: 1-line block ×7, first 2 shown]
	v_mul_f16_e32 v119, 0xbb47, v32
	v_mul_f16_e32 v120, 0xbb47, v31
	;; [unrolled: 1-line block ×11, first 2 shown]
	v_mul_f16_e64 v128, 0xbbeb, v35
	v_mul_f16_e64 v129, 0x3482, v36
	;; [unrolled: 1-line block ×7, first 2 shown]
	v_mul_f16_e32 v36, 0xba0c, v36
	v_mul_f16_e32 v35, 0xba0c, v35
	v_mul_f16_e64 v135, 0xba0c, v90
	v_mul_f16_e64 v136, 0xba0c, v88
	;; [unrolled: 1-line block ×7, first 2 shown]
	v_mul_f16_e32 v90, 0x3b47, v90
	v_mul_f16_e64 v142, 0xb482, v88
	v_mul_f16_e32 v88, 0x3b47, v88
	v_mul_f16_e64 v143, 0xb482, v102
	v_mul_f16_e64 v144, 0x3853, v102
	;; [unrolled: 1-line block ×5, first 2 shown]
	v_mul_f16_e32 v102, 0xb482, v109
	v_mul_f16_e64 v148, 0x3853, v109
	v_mul_f16_e64 v149, 0xba0c, v109
	;; [unrolled: 1-line block ×3, first 2 shown]
	v_mul_f16_e32 v109, 0xbbeb, v109
	v_fma_f16 v24, v27, 0x3abb, -v26
	v_fmamk_f16 v85, v28, 0x3abb, v83
	v_fmac_f16_e32 v26, 0x3abb, v27
	v_fma_f16 v83, v28, 0x3abb, -v83
	v_fma_f16 v151, v27, 0x36a6, -v113
	v_fma_f16 v152, 0x36a6, v28, v114
	v_fmac_f16_e32 v113, 0x36a6, v27
	v_fma_f16 v114, v28, 0x36a6, -v114
	v_fma_f16 v153, v27, 0xb08e, -v115
	v_fma_f16 v154, 0xb08e, v28, v116
	v_fmac_f16_e32 v115, 0xb08e, v27
	v_fma_f16 v116, v28, 0xb08e, -v116
	v_fma_f16 v155, v27, 0xb93d, -v117
	v_fma_f16 v156, 0xb93d, v28, v118
	v_fmac_f16_e32 v117, 0xb93d, v27
	v_fma_f16 v157, v27, 0xbbad, -v22
	v_fma_f16 v158, 0xbbad, v28, v9
	v_fmac_f16_e32 v22, 0xbbad, v27
	v_fma_f16 v118, v28, 0xb93d, -v118
	v_fma_f16 v9, v28, 0xbbad, -v9
	v_add_f16_e32 v14, v14, v15
	v_add_f16_e32 v15, v19, v89
	v_fma_f16 v27, v29, 0x36a6, -v119
	v_fmamk_f16 v28, v30, 0x36a6, v120
	v_fmac_f16_e32 v119, 0x36a6, v29
	v_fma_f16 v120, v30, 0x36a6, -v120
	v_fma_f16 v159, v29, 0xb93d, -v121
	v_fma_f16 v160, 0xb93d, v30, v122
	v_fmac_f16_e32 v121, 0xb93d, v29
	v_fma_f16 v122, v30, 0xb93d, -v122
	v_fma_f16 v161, v29, 0xbbad, -v123
	v_fma_f16 v162, 0xbbad, v30, v124
	;; [unrolled: 4-line block ×6, first 2 shown]
	v_fmac_f16_e64 v129, 0xbbad, v33
	v_fma_f16 v130, v34, 0xbbad, -v130
	v_fma_f16 v169, v33, 0x36a6, -v131
	v_fma_f16 v170, 0x36a6, v34, v132
	v_fmac_f16_e64 v131, 0x36a6, v33
	v_fma_f16 v132, v34, 0x36a6, -v132
	v_fma_f16 v171, v33, 0x3abb, -v133
	v_fma_f16 v172, 0x3abb, v34, v134
	;; [unrolled: 4-line block ×3, first 2 shown]
	v_fmac_f16_e32 v36, 0xb93d, v33
	v_fma_f16 v33, v34, 0xb93d, -v35
	v_fma_f16 v34, v84, 0xb93d, -v135
	v_fmac_f16_e64 v135, 0xb93d, v84
	v_fma_f16 v35, v84, 0xb08e, -v137
	v_fmac_f16_e64 v137, 0xb08e, v84
	;; [unrolled: 2-line block ×4, first 2 shown]
	v_fma_f16 v177, v84, 0x36a6, -v90
	v_fmac_f16_e32 v90, 0x36a6, v84
	v_fma_f16 v84, 0xb93d, v86, v136
	v_fma_f16 v136, v86, 0xb93d, -v136
	v_fma_f16 v178, 0xb08e, v86, v138
	v_fma_f16 v138, v86, 0xb08e, -v138
	;; [unrolled: 2-line block ×5, first 2 shown]
	v_fma_f16 v88, v105, 0xbbad, -v143
	v_fmac_f16_e64 v143, 0xbbad, v105
	v_fma_f16 v182, v105, 0x3abb, -v144
	v_fmac_f16_e64 v144, 0x3abb, v105
	;; [unrolled: 2-line block ×5, first 2 shown]
	v_fmamk_f16 v105, v111, 0xbbad, v102
	v_fma_f16 v102, v111, 0xbbad, -v102
	v_fma_f16 v186, 0x3abb, v111, v148
	v_fma_f16 v148, v111, 0x3abb, -v148
	v_fma_f16 v187, 0xb93d, v111, v149
	;; [unrolled: 2-line block ×4, first 2 shown]
	v_fma_f16 v109, v111, 0xb08e, -v109
	v_add_f16_e32 v24, v8, v24
	v_add_f16_e32 v26, v8, v26
	v_add_f16_e64 v111, v8, v151
	v_add_f16_e32 v113, v8, v113
	v_add_f16_e64 v151, v8, v153
	;; [unrolled: 2-line block ×4, first 2 shown]
	v_add_f16_e32 v8, v8, v22
	v_add_f16_e32 v20, v25, v85
	v_add_f16_e32 v22, v25, v83
	v_add_f16_e64 v83, v25, v152
	v_add_f16_e32 v85, v25, v114
	v_add_f16_e64 v87, v25, v154
	v_add_f16_e32 v114, v25, v116
	v_add_f16_e64 v116, v25, v156
	v_add_f16_e64 v152, v25, v158
	v_add_f16_e32 v118, v25, v118
	v_add_f16_e32 v9, v25, v9
	v_add_f16_e32 v12, v14, v12
	v_add_f16_e32 v14, v15, v91
	v_add_f16_e32 v19, v27, v24
	v_add_f16_e32 v20, v28, v20
	v_add_f16_e32 v24, v119, v26
	v_add_f16_e32 v22, v120, v22
	v_add_f16_e64 v25, v159, v111
	v_add_f16_e64 v26, v160, v83
	v_add_f16_e32 v27, v121, v113
	v_add_f16_e32 v28, v122, v85
	v_add_f16_e64 v83, v161, v151
	v_add_f16_e64 v85, v162, v87
	v_add_f16_e32 v87, v123, v115
	v_add_f16_e32 v89, v124, v114
	v_add_f16_e64 v111, v163, v153
	v_add_f16_e64 v113, v164, v116
	v_add_f16_e32 v114, v125, v117
	v_add_f16_e64 v116, v165, v155
	v_add_f16_e64 v117, v166, v152
	v_add_f16_e32 v115, v126, v118
	v_add_f16_e32 v8, v32, v8
	;; [unrolled: 1-line block ×8, first 2 shown]
	v_add_f16_e64 v22, v128, v22
	v_add_f16_e64 v24, v167, v25
	;; [unrolled: 1-line block ×15, first 2 shown]
	v_add_f16_e32 v8, v36, v8
	v_add_f16_e32 v9, v33, v9
	;; [unrolled: 1-line block ×6, first 2 shown]
	v_add_f16_e64 v19, v135, v20
	v_add_f16_e64 v20, v136, v22
	v_add_f16_e32 v22, v35, v24
	v_add_f16_e64 v24, v178, v25
	v_add_f16_e64 v25, v137, v26
	;; [unrolled: 1-line block ×12, first 2 shown]
	v_add_f16_e32 v8, v90, v8
	v_add_f16_e32 v9, v86, v9
	v_add_f16_e64 v30, v140, v31
	v_add_f16_e32 v10, v10, v11
	v_add_f16_e32 v11, v12, v110
	;; [unrolled: 1-line block ×4, first 2 shown]
	v_add_f16_e64 v32, v143, v19
	v_add_f16_e32 v103, v102, v20
	v_add_f16_e64 v15, v182, v22
	v_add_f16_e64 v19, v186, v24
	v_add_f16_e64 v31, v144, v25
	v_add_f16_e64 v105, v148, v26
	v_add_f16_e64 v20, v183, v27
	v_add_f16_e64 v22, v187, v28
	v_add_f16_e64 v28, v145, v29
	v_add_f16_e64 v24, v184, v33
	v_add_f16_e64 v25, v188, v34
	v_add_f16_e64 v26, v185, v83
	v_add_f16_e64 v29, v189, v84
	v_add_f16_e64 v27, v146, v35
	v_add_f16_e64 v102, v150, v36
	v_add_f16_e64 v8, v147, v8
	v_add_f16_e32 v9, v109, v9
	v_add_f16_e64 v108, v149, v30
	v_add_f16_e32 v10, v10, v21
	v_add_f16_e32 v11, v11, v112
	v_pack_b32_f16 v12, v13, v14
	v_pack_b32_f16 v13, v15, v19
	;; [unrolled: 1-line block ×11, first 2 shown]
	ds_store_2addr_b32 v81, v13, v14 offset0:44 offset1:66
	ds_store_2addr_b32 v81, v15, v19 offset0:88 offset1:110
	;; [unrolled: 1-line block ×4, first 2 shown]
	ds_store_b32 v81, v22 offset:880
	ds_store_2addr_b32 v81, v10, v12 offset1:22
	global_wb scope:SCOPE_SE
	s_wait_dscnt 0x0
	s_barrier_signal -1
	s_barrier_wait -1
	global_inv scope:SCOPE_SE
	ds_load_2addr_b32 v[29:30], v37 offset1:242
	ds_load_2addr_b32 v[35:36], v106 offset0:4 offset1:246
	ds_load_2addr_b32 v[33:34], v107 offset0:8 offset1:250
	ds_load_b32 v83, v37 offset:5808
	v_add_co_u32 v25, s0, s8, v37
	s_wait_alu 0xf1ff
	v_add_co_ci_u32_e64 v26, null, s9, 0, s0
	v_cmp_gt_u16_e64 s0, 0x58, v54
                                        ; implicit-def: $vgpr110
                                        ; implicit-def: $vgpr109
                                        ; implicit-def: $vgpr111
	s_delay_alu instid0(VALU_DEP_1)
	s_and_saveexec_b32 s1, s0
	s_cbranch_execz .LBB0_7
; %bb.6:
	v_add_nc_u32_e32 v8, 0x240, v37
	v_add_nc_u32_e32 v9, 0x9e0, v37
	;; [unrolled: 1-line block ×3, first 2 shown]
	ds_load_2addr_b32 v[27:28], v8 offset0:10 offset1:252
	ds_load_2addr_b32 v[31:32], v9 offset0:6 offset1:248
	ds_load_2addr_b32 v[23:24], v10 offset0:2 offset1:244
	ds_load_b32 v109, v37 offset:6424
	s_wait_dscnt 0x3
	v_lshrrev_b32_e32 v102, 16, v27
	v_lshrrev_b32_e32 v108, 16, v28
	s_wait_dscnt 0x2
	v_lshrrev_b32_e32 v105, 16, v31
	v_lshrrev_b32_e32 v103, 16, v32
	;; [unrolled: 3-line block ×3, first 2 shown]
	s_wait_dscnt 0x0
	v_lshrrev_b32_e32 v111, 16, v109
.LBB0_7:
	s_wait_alu 0xfffe
	s_or_b32 exec_lo, exec_lo, s1
	v_mad_co_u64_u32 v[8:9], null, v54, 24, s[10:11]
	s_wait_dscnt 0x2
	v_lshrrev_b32_e32 v84, 16, v35
	v_lshrrev_b32_e32 v85, 16, v36
	s_wait_dscnt 0x1
	v_lshrrev_b32_e32 v113, 16, v33
	v_lshrrev_b32_e32 v114, 16, v34
	;; [unrolled: 3-line block ×3, first 2 shown]
	s_clause 0x1
	global_load_b128 v[12:15], v[8:9], off offset:924
	global_load_b64 v[21:22], v[8:9], off offset:940
	v_add_nc_u32_e32 v8, 0xffffffa8, v54
	s_delay_alu instid0(VALU_DEP_1) | instskip(SKIP_1) | instid1(VALU_DEP_2)
	v_cndmask_b32_e64 v8, v8, v82, s0
	v_lshrrev_b32_e32 v82, 16, v30
	v_mul_i32_i24_e32 v9, 24, v8
	v_mul_hi_i32_i24_e32 v8, 24, v8
	s_delay_alu instid0(VALU_DEP_2) | instskip(SKIP_1) | instid1(VALU_DEP_2)
	v_add_co_u32 v19, s1, s10, v9
	s_wait_alu 0xf1ff
	v_add_co_ci_u32_e64 v20, s1, s11, v8, s1
	s_clause 0x1
	global_load_b128 v[8:11], v[19:20], off offset:924
	global_load_b64 v[19:20], v[19:20], off offset:940
	s_wait_loadcnt 0x3
	v_lshrrev_b32_e32 v91, 16, v12
	v_lshrrev_b32_e32 v90, 16, v13
	v_lshrrev_b32_e32 v89, 16, v14
	v_lshrrev_b32_e32 v87, 16, v15
	s_wait_loadcnt 0x2
	v_lshrrev_b32_e32 v86, 16, v21
	v_lshrrev_b32_e32 v88, 16, v22
	v_mul_f16_e32 v116, v82, v91
	v_mul_f16_e32 v117, v30, v91
	;; [unrolled: 1-line block ×12, first 2 shown]
	v_fma_f16 v30, v30, v12, -v116
	v_fmac_f16_e32 v117, v82, v12
	v_fma_f16 v116, v35, v13, -v118
	v_fmac_f16_e32 v119, v84, v13
	v_fma_f16 v118, v36, v14, -v120
	v_fmac_f16_e32 v121, v85, v14
	v_fma_f16 v33, v33, v15, -v122
	v_fmac_f16_e32 v123, v113, v15
	v_fma_f16 v34, v34, v21, -v124
	v_fmac_f16_e32 v125, v114, v21
	v_fma_f16 v113, v83, v22, -v126
	v_fmac_f16_e32 v127, v115, v22
	s_wait_loadcnt 0x1
	v_lshrrev_b32_e32 v84, 16, v8
	v_lshrrev_b32_e32 v82, 16, v9
	;; [unrolled: 1-line block ×3, first 2 shown]
	s_wait_loadcnt 0x0
	v_lshrrev_b32_e32 v83, 16, v19
	v_lshrrev_b32_e32 v85, 16, v20
	;; [unrolled: 1-line block ×3, first 2 shown]
	v_add_f16_e32 v114, v30, v113
	v_add_f16_e32 v115, v117, v127
	v_sub_f16_e32 v30, v30, v113
	v_sub_f16_e32 v113, v117, v127
	v_add_f16_e32 v117, v116, v34
	v_add_f16_e32 v120, v119, v125
	v_sub_f16_e32 v34, v116, v34
	v_sub_f16_e32 v116, v119, v125
	;; [unrolled: 4-line block ×3, first 2 shown]
	v_mul_f16_e32 v121, v108, v84
	v_mul_f16_e32 v123, v28, v84
	;; [unrolled: 1-line block ×4, first 2 shown]
	v_mul_f16_e64 v129, v23, v36
	v_mul_f16_e64 v130, v110, v83
	;; [unrolled: 1-line block ×5, first 2 shown]
	v_mul_f16_e32 v126, v103, v35
	v_mul_f16_e32 v127, v32, v35
	v_mul_f16_e64 v128, v97, v36
	v_add_f16_e64 v134, v117, v114
	v_add_f16_e64 v135, v120, v115
	v_sub_f16_e64 v136, v117, v114
	v_sub_f16_e64 v137, v120, v115
	v_sub_f16_e32 v114, v114, v119
	v_sub_f16_e32 v115, v115, v122
	v_add_f16_e64 v138, v33, v34
	v_add_f16_e64 v139, v118, v116
	v_sub_f16_e64 v140, v33, v34
	v_sub_f16_e64 v141, v118, v116
	v_sub_f16_e32 v34, v34, v30
	v_sub_f16_e32 v116, v116, v113
	v_fma_f16 v28, v28, v8, -v121
	v_fmac_f16_e32 v123, v108, v8
	v_fma_f16 v31, v31, v9, -v124
	v_fmac_f16_e32 v125, v105, v9
	v_fmac_f16_e64 v129, v97, v11
	v_fma_f16 v24, v24, v19, -v130
	v_fmac_f16_e64 v131, v110, v19
	v_fma_f16 v97, v109, v20, -v132
	v_fmac_f16_e64 v133, v111, v20
	v_sub_f16_e32 v117, v119, v117
	v_sub_f16_e32 v120, v122, v120
	;; [unrolled: 1-line block ×4, first 2 shown]
	v_fma_f16 v32, v32, v10, -v126
	v_fmac_f16_e32 v127, v103, v10
	v_fma_f16 v23, v23, v11, -v128
	v_add_f16_e64 v103, v119, v134
	v_add_f16_e64 v105, v122, v135
	v_mul_f16_e32 v109, 0x3a52, v114
	v_mul_f16_e32 v110, 0x3a52, v115
	v_mul_f16_e64 v114, 0xb846, v140
	v_mul_f16_e64 v115, 0xb846, v141
	v_mul_f16_e32 v119, 0x3b00, v34
	v_mul_f16_e32 v121, 0x3b00, v116
	v_add_f16_e32 v122, v28, v97
	v_add_f16_e64 v124, v123, v133
	v_sub_f16_e32 v28, v28, v97
	v_sub_f16_e64 v97, v123, v133
	v_add_f16_e32 v123, v31, v24
	v_add_f16_e64 v126, v125, v131
	v_add_f16_e64 v108, v139, v113
	v_mul_f16_e32 v111, 0x2b26, v117
	v_mul_f16_e32 v113, 0x2b26, v120
	v_sub_f16_e32 v24, v31, v24
	v_sub_f16_e64 v31, v125, v131
	v_add_f16_e32 v125, v32, v23
	v_add_f16_e64 v128, v127, v129
	v_sub_f16_e32 v23, v23, v32
	v_sub_f16_e64 v32, v129, v127
	v_add_f16_e32 v29, v29, v103
	v_add_f16_e32 v112, v112, v105
	v_fmamk_f16 v127, v33, 0x3574, v114
	v_fma_f16 v129, 0x3574, v118, v115
	v_fma_f16 v114, v34, 0x3b00, -v114
	v_fma_f16 v115, v116, 0x3b00, -v115
	;; [unrolled: 1-line block ×4, first 2 shown]
	v_add_f16_e32 v33, v123, v122
	v_add_f16_e32 v34, v126, v124
	v_add_f16_e64 v30, v138, v30
	v_fmamk_f16 v117, v117, 0x2b26, v109
	v_fmamk_f16 v120, v120, 0x2b26, v110
	v_fma_f16 v111, v136, 0x39e0, -v111
	v_fma_f16 v113, v137, 0x39e0, -v113
	;; [unrolled: 1-line block ×4, first 2 shown]
	v_sub_f16_e32 v119, v123, v122
	v_sub_f16_e32 v121, v126, v124
	v_sub_f16_e32 v122, v122, v125
	v_sub_f16_e64 v124, v124, v128
	v_sub_f16_e32 v123, v125, v123
	v_sub_f16_e64 v126, v128, v126
	v_add_f16_e64 v130, v23, v24
	v_add_f16_e64 v131, v32, v31
	v_sub_f16_e64 v132, v23, v24
	v_sub_f16_e64 v133, v32, v31
	;; [unrolled: 1-line block ×3, first 2 shown]
	v_sub_f16_e32 v24, v24, v28
	v_sub_f16_e32 v32, v31, v97
	v_fmamk_f16 v31, v103, 0xbcab, v29
	v_fmamk_f16 v103, v105, 0xbcab, v112
	v_fmac_f16_e64 v129, 0x370e, v108
	v_fmac_f16_e32 v115, 0x370e, v108
	v_fmac_f16_e32 v118, 0x370e, v108
	v_add_f16_e32 v105, v125, v33
	v_add_f16_e64 v108, v128, v34
	v_sub_f16_e32 v23, v28, v23
	v_fmac_f16_e32 v127, 0x370e, v30
	v_fmac_f16_e32 v114, 0x370e, v30
	;; [unrolled: 1-line block ×3, first 2 shown]
	v_pack_b32_f16 v135, v29, v112
	v_add_f16_e64 v112, v130, v28
	v_mul_f16_e32 v29, 0x3a52, v122
	v_mul_f16_e32 v30, 0x3a52, v124
	;; [unrolled: 1-line block ×4, first 2 shown]
	v_mul_f16_e64 v122, 0xb846, v132
	v_mul_f16_e64 v124, 0xb846, v133
	v_mul_f16_e32 v125, 0x3b00, v24
	v_mul_f16_e64 v128, 0x3b00, v32
	v_add_f16_e32 v120, v120, v103
	v_add_f16_e32 v111, v111, v31
	;; [unrolled: 1-line block ×7, first 2 shown]
	v_add_f16_e64 v97, v131, v97
	v_add_f16_e32 v117, v117, v31
	v_fmamk_f16 v102, v123, 0x2b26, v29
	v_fmamk_f16 v123, v126, 0x2b26, v30
	v_fma_f16 v110, v119, 0x39e0, -v33
	v_fma_f16 v126, v121, 0x39e0, -v34
	;; [unrolled: 1-line block ×4, first 2 shown]
	v_fmamk_f16 v30, v23, 0x3574, v122
	v_fma_f16 v31, 0x3574, v134, v124
	v_fma_f16 v34, v24, 0x3b00, -v122
	v_fma_f16 v29, v32, 0x3b00, -v124
	;; [unrolled: 1-line block ×4, first 2 shown]
	v_add_f16_e32 v122, v118, v109
	v_sub_f16_e32 v124, v103, v116
	v_sub_f16_e32 v125, v111, v115
	v_add_f16_e64 v128, v114, v113
	v_add_f16_e32 v111, v115, v111
	v_sub_f16_e32 v113, v113, v114
	v_sub_f16_e32 v109, v109, v118
	v_add_f16_e32 v103, v116, v103
	v_fmamk_f16 v105, v105, 0xbcab, v27
	v_fmamk_f16 v116, v108, 0xbcab, v28
	v_add_f16_e64 v23, v129, v117
	v_sub_f16_e32 v24, v120, v127
	v_fmac_f16_e32 v30, 0x370e, v112
	v_fmac_f16_e32 v31, 0x370e, v97
	;; [unrolled: 1-line block ×6, first 2 shown]
	v_pack_b32_f16 v118, v122, v124
	v_pack_b32_f16 v122, v111, v113
	;; [unrolled: 1-line block ×3, first 2 shown]
	v_add_f16_e32 v109, v102, v105
	v_add_f16_e32 v108, v110, v105
	;; [unrolled: 1-line block ×6, first 2 shown]
	v_sub_f16_e64 v114, v117, v129
	v_add_f16_e32 v115, v127, v120
	v_pack_b32_f16 v117, v23, v24
	v_add_f16_e32 v23, v29, v108
	v_sub_f16_e32 v105, v113, v34
	v_sub_f16_e32 v24, v110, v33
	v_add_f16_e32 v97, v32, v111
	v_sub_f16_e32 v102, v109, v31
	v_add_f16_e32 v103, v30, v112
	v_pack_b32_f16 v120, v125, v128
	v_pack_b32_f16 v114, v114, v115
	ds_store_2addr_b32 v37, v135, v117 offset1:242
	ds_store_2addr_b32 v106, v118, v120 offset0:4 offset1:246
	ds_store_2addr_b32 v107, v122, v124 offset0:8 offset1:250
	ds_store_b32 v37, v114 offset:5808
	s_and_saveexec_b32 s1, s0
	s_cbranch_execz .LBB0_9
; %bb.8:
	v_sub_f16_e32 v30, v112, v30
	v_add_f16_e32 v31, v31, v109
	v_add_f16_e32 v34, v34, v113
	v_sub_f16_e32 v32, v111, v32
	v_add_f16_e32 v33, v33, v110
	v_sub_f16_e32 v29, v108, v29
	v_perm_b32 v27, v28, v27, 0x5040100
	v_pack_b32_f16 v28, v31, v30
	v_add_nc_u32_e32 v30, 0x240, v37
	v_pack_b32_f16 v31, v33, v32
	v_pack_b32_f16 v29, v29, v34
	v_add_nc_u32_e32 v32, 0x9e0, v37
	v_perm_b32 v33, v105, v23, 0x5040100
	v_perm_b32 v34, v97, v24, 0x5040100
	v_add_nc_u32_e32 v106, 0x1180, v37
	v_perm_b32 v107, v103, v102, 0x5040100
	ds_store_2addr_b32 v30, v27, v28 offset0:10 offset1:252
	ds_store_2addr_b32 v32, v31, v29 offset0:6 offset1:248
	;; [unrolled: 1-line block ×3, first 2 shown]
	ds_store_b32 v37, v107 offset:6424
.LBB0_9:
	s_wait_alu 0xfffe
	s_or_b32 exec_lo, exec_lo, s1
	s_add_nc_u64 s[8:9], s[8:9], 0x1a78
	global_wb scope:SCOPE_SE
	s_wait_dscnt 0x0
	s_barrier_signal -1
	s_barrier_wait -1
	global_inv scope:SCOPE_SE
	s_clause 0xa
	global_load_b32 v27, v[25:26], off offset:6776
	global_load_b32 v28, v37, s[8:9] offset:616
	global_load_b32 v34, v37, s[8:9] offset:1848
	;; [unrolled: 1-line block ×10, first 2 shown]
	ds_load_2addr_b32 v[25:26], v37 offset1:154
	v_add_nc_u32_e32 v115, 0xe00, v37
	v_add_nc_u32_e32 v116, 0x1200, v37
	s_wait_dscnt 0x0
	v_lshrrev_b32_e32 v29, 16, v25
	v_lshrrev_b32_e32 v31, 16, v26
	s_wait_loadcnt 0xa
	v_lshrrev_b32_e32 v30, 16, v27
	s_wait_loadcnt 0x9
	;; [unrolled: 2-line block ×5, first 2 shown]
	v_lshrrev_b32_e32 v119, 16, v107
	v_mul_f16_e32 v33, v29, v30
	v_mul_f16_e32 v30, v25, v30
	;; [unrolled: 1-line block ×4, first 2 shown]
	s_wait_loadcnt 0x3
	v_lshrrev_b32_e32 v122, 16, v110
	v_fma_f16 v25, v25, v27, -v33
	v_fmac_f16_e32 v30, v29, v27
	v_fma_f16 v26, v26, v28, -v114
	v_fmac_f16_e32 v32, v31, v28
	v_add_nc_u32_e32 v27, 0x400, v37
	v_add_nc_u32_e32 v114, 0x900, v37
	v_pack_b32_f16 v25, v25, v30
	v_lshrrev_b32_e32 v120, 16, v108
	v_pack_b32_f16 v26, v26, v32
	v_lshrrev_b32_e32 v121, 16, v109
	s_wait_loadcnt 0x2
	v_lshrrev_b32_e32 v124, 16, v111
	s_wait_loadcnt 0x1
	;; [unrolled: 2-line block ×3, first 2 shown]
	v_lshrrev_b32_e32 v126, 16, v113
	ds_store_2addr_b32 v37, v25, v26 offset1:154
	ds_load_2addr_b32 v[25:26], v27 offset0:52 offset1:206
	ds_load_2addr_b32 v[28:29], v114 offset0:40 offset1:194
	;; [unrolled: 1-line block ×4, first 2 shown]
	ds_load_b32 v123, v37 offset:6160
	s_wait_dscnt 0x4
	v_lshrrev_b32_e32 v127, 16, v25
	v_lshrrev_b32_e32 v129, 16, v26
	s_wait_dscnt 0x3
	v_lshrrev_b32_e32 v131, 16, v28
	v_lshrrev_b32_e32 v133, 16, v29
	;; [unrolled: 3-line block ×4, first 2 shown]
	s_wait_dscnt 0x0
	v_lshrrev_b32_e32 v143, 16, v123
	v_mul_f16_e64 v128, v25, v122
	v_mul_f16_e64 v130, v26, v117
	v_mul_f16_e32 v122, v127, v122
	v_mul_f16_e64 v117, v129, v117
	v_mul_f16_e64 v132, v28, v118
	;; [unrolled: 1-line block ×15, first 2 shown]
	v_fmac_f16_e64 v128, v127, v110
	v_fmac_f16_e64 v130, v129, v34
	v_fma_f16 v25, v25, v110, -v122
	v_fma_f16 v26, v26, v34, -v117
	v_fmac_f16_e64 v132, v131, v106
	v_fmac_f16_e64 v134, v133, v107
	v_fma_f16 v28, v28, v106, -v118
	v_fma_f16 v29, v29, v107, -v119
	;; [unrolled: 4-line block ×4, first 2 shown]
	v_fmac_f16_e64 v144, v143, v113
	v_fma_f16 v34, v123, v113, -v126
	v_pack_b32_f16 v25, v25, v128
	v_pack_b32_f16 v26, v26, v130
	;; [unrolled: 1-line block ×9, first 2 shown]
	ds_store_2addr_b32 v27, v25, v26 offset0:52 offset1:206
	ds_store_2addr_b32 v114, v28, v29 offset0:40 offset1:194
	;; [unrolled: 1-line block ×4, first 2 shown]
	ds_store_b32 v37, v34 offset:6160
	global_wb scope:SCOPE_SE
	s_wait_dscnt 0x0
	s_barrier_signal -1
	s_barrier_wait -1
	global_inv scope:SCOPE_SE
	ds_load_2addr_b32 v[29:30], v37 offset1:154
	ds_load_b32 v28, v37 offset:6160
	ds_load_2addr_b32 v[31:32], v27 offset0:52 offset1:206
	ds_load_2addr_b32 v[25:26], v116 offset0:80 offset1:234
	;; [unrolled: 1-line block ×4, first 2 shown]
	v_add_nc_u32_e32 v108, 0x980, v37
	v_add_nc_u32_e32 v109, 0xf00, v37
	;; [unrolled: 1-line block ×3, first 2 shown]
	global_wb scope:SCOPE_SE
	s_wait_dscnt 0x0
	s_barrier_signal -1
	s_barrier_wait -1
	global_inv scope:SCOPE_SE
	v_pk_add_f16 v111, v29, v30
	v_pk_add_f16 v112, v28, v30
	v_pk_add_f16 v30, v30, v28 neg_lo:[0,1] neg_hi:[0,1]
	v_pk_add_f16 v114, v26, v31
	v_pk_add_f16 v115, v31, v26 neg_lo:[0,1] neg_hi:[0,1]
	v_pk_add_f16 v120, v106, v34
	v_pk_add_f16 v31, v111, v31
	;; [unrolled: 1-line block ×3, first 2 shown]
	v_pk_add_f16 v117, v32, v25 neg_lo:[0,1] neg_hi:[0,1]
	v_pk_add_f16 v118, v107, v33
	v_pk_add_f16 v119, v33, v107 neg_lo:[0,1] neg_hi:[0,1]
	v_pk_add_f16 v121, v34, v106 neg_lo:[0,1] neg_hi:[0,1]
	v_pk_mul_f16 v111, 0xb853, v30 op_sel_hi:[0,1]
	v_lshrrev_b32_e32 v123, 16, v30
	v_lshrrev_b32_e32 v124, 16, v112
	;; [unrolled: 1-line block ×3, first 2 shown]
	v_pk_mul_f16 v137, 0xbbad, v112 op_sel_hi:[0,1]
	v_pk_add_f16 v31, v31, v32
	v_pk_mul_f16 v125, 0xbb47, v115 op_sel_hi:[0,1]
	v_lshrrev_b32_e32 v126, 16, v115
	v_lshrrev_b32_e32 v127, 16, v114
	v_pk_mul_f16 v128, 0xbbeb, v117 op_sel_hi:[0,1]
	v_lshrrev_b32_e32 v130, 16, v116
	v_pk_mul_f16 v131, 0xba0c, v119 op_sel_hi:[0,1]
	;; [unrolled: 2-line block ×3, first 2 shown]
	v_pk_fma_f16 v32, 0x3abb, v112, v111 op_sel:[0,0,1] op_sel_hi:[0,1,0]
	v_pk_fma_f16 v111, 0x3abb, v112, v111 op_sel:[0,0,1] op_sel_hi:[0,1,0] neg_lo:[0,0,1] neg_hi:[0,0,1]
	v_mul_f16_e64 v142, 0xbb47, v123
	v_mul_f16_e64 v143, 0x36a6, v124
	;; [unrolled: 1-line block ×4, first 2 shown]
	v_lshrrev_b32_e32 v129, 16, v117
	v_lshrrev_b32_e32 v132, 16, v119
	v_lshrrev_b32_e32 v135, 16, v121
	v_mul_f16_e32 v123, 0xba0c, v123
	v_mul_f16_e32 v124, 0xb93d, v124
	v_pk_mul_f16 v138, 0x3abb, v114 op_sel_hi:[0,1]
	v_pk_mul_f16 v141, 0xb08e, v120 op_sel_hi:[0,1]
	v_mul_f16_e64 v163, 0x3abb, v136
	v_mul_f16_e64 v165, 0xb93d, v136
	;; [unrolled: 1-line block ×3, first 2 shown]
	v_pk_fma_f16 v166, 0xb482, v30, v137 op_sel:[0,0,1] op_sel_hi:[0,1,0]
	v_pk_add_f16 v31, v31, v33
	v_lshrrev_b32_e32 v113, 16, v29
	v_pk_mul_f16 v139, 0xb93d, v116 op_sel_hi:[0,1]
	v_pk_mul_f16 v140, 0x36a6, v118 op_sel_hi:[0,1]
	v_pk_fma_f16 v146, 0x36a6, v114, v125 op_sel:[0,0,1] op_sel_hi:[0,1,0]
	v_pk_fma_f16 v125, 0x36a6, v114, v125 op_sel:[0,0,1] op_sel_hi:[0,1,0] neg_lo:[0,0,1] neg_hi:[0,0,1]
	v_mul_f16_e64 v147, 0xba0c, v126
	v_mul_f16_e64 v148, 0xb93d, v127
	;; [unrolled: 1-line block ×4, first 2 shown]
	v_mul_f16_e32 v127, 0xb08e, v127
	v_pk_fma_f16 v151, 0xb08e, v116, v128 op_sel:[0,0,1] op_sel_hi:[0,1,0]
	v_pk_fma_f16 v128, 0xb08e, v116, v128 op_sel:[0,0,1] op_sel_hi:[0,1,0] neg_lo:[0,0,1] neg_hi:[0,0,1]
	v_mul_f16_e64 v153, 0xbbad, v130
	v_mul_f16_e64 v155, 0x36a6, v130
	;; [unrolled: 1-line block ×3, first 2 shown]
	v_pk_fma_f16 v156, 0xb93d, v118, v131 op_sel:[0,0,1] op_sel_hi:[0,1,0]
	v_pk_fma_f16 v131, 0xb93d, v118, v131 op_sel:[0,0,1] op_sel_hi:[0,1,0] neg_lo:[0,0,1] neg_hi:[0,0,1]
	v_mul_f16_e64 v158, 0xb08e, v133
	v_mul_f16_e64 v160, 0x3abb, v133
	;; [unrolled: 1-line block ×3, first 2 shown]
	v_pk_fma_f16 v161, 0xbbad, v120, v134 op_sel:[0,0,1] op_sel_hi:[0,1,0]
	v_pk_fma_f16 v134, 0xbbad, v120, v134 op_sel:[0,0,1] op_sel_hi:[0,1,0] neg_lo:[0,0,1] neg_hi:[0,0,1]
	v_bfi_b32 v33, 0xffff, v32, v111
	v_fma_f16 v171, 0x36a6, v112, v142
	v_fma_f16 v172, 0x3b47, v30, v143
	v_fma_f16 v142, v112, 0x36a6, -v142
	v_fmac_f16_e64 v143, 0xbb47, v30
	v_fma_f16 v173, 0xb08e, v112, v144
	v_fma_f16 v174, 0x3beb, v30, v145
	v_alignbit_b32 v122, s0, v29, 16
	v_mul_f16_e32 v126, 0x3beb, v126
	v_mul_f16_e64 v152, 0x3482, v129
	v_mul_f16_e64 v154, 0x3b47, v129
	;; [unrolled: 1-line block ×9, first 2 shown]
	v_pk_fma_f16 v137, 0xb482, v30, v137 op_sel:[0,0,1] op_sel_hi:[0,1,0] neg_lo:[0,1,0] neg_hi:[0,1,0]
	v_fma_f16 v175, 0xb93d, v112, v123
	v_fma_f16 v176, 0x3a0c, v30, v124
	v_pk_fma_f16 v167, 0x3853, v115, v138 op_sel:[0,0,1] op_sel_hi:[0,1,0]
	v_pk_fma_f16 v170, 0xbbeb, v121, v141 op_sel:[0,0,1] op_sel_hi:[0,1,0]
	v_pk_fma_f16 v141, 0xbbeb, v121, v141 op_sel:[0,0,1] op_sel_hi:[0,1,0] neg_lo:[0,1,0] neg_hi:[0,1,0]
	v_fma_f16 v144, v112, 0xb08e, -v144
	v_fma_f16 v112, v112, 0xb93d, -v123
	v_fma_f16 v192, 0xb853, v121, v163
	v_fmac_f16_e64 v163, 0x3853, v121
	v_fma_f16 v194, 0x3a0c, v121, v165
	v_fmac_f16_e64 v165, 0xba0c, v121
	;; [unrolled: 2-line block ×3, first 2 shown]
	v_alignbit_b32 v121, s0, v166, 16
	v_fmac_f16_e64 v145, 0xbbeb, v30
	v_fmac_f16_e32 v124, 0xba0c, v30
	v_pk_add_f16 v31, v31, v34
	v_pk_fma_f16 v138, 0x3853, v115, v138 op_sel:[0,0,1] op_sel_hi:[0,1,0] neg_lo:[0,1,0] neg_hi:[0,1,0]
	v_pk_fma_f16 v168, 0xba0c, v117, v139 op_sel:[0,0,1] op_sel_hi:[0,1,0]
	v_pk_fma_f16 v139, 0xba0c, v117, v139 op_sel:[0,0,1] op_sel_hi:[0,1,0] neg_lo:[0,1,0] neg_hi:[0,1,0]
	v_pk_fma_f16 v169, 0x3b47, v119, v140 op_sel:[0,0,1] op_sel_hi:[0,1,0]
	v_pk_fma_f16 v140, 0x3b47, v119, v140 op_sel:[0,0,1] op_sel_hi:[0,1,0] neg_lo:[0,1,0] neg_hi:[0,1,0]
	v_bfi_b32 v30, 0xffff, v146, v125
	v_fma_f16 v123, 0xb93d, v114, v147
	v_fma_f16 v177, 0x3a0c, v115, v148
	v_fma_f16 v147, v114, 0xb93d, -v147
	v_fmac_f16_e64 v148, 0xba0c, v115
	v_fma_f16 v178, 0xbbad, v114, v149
	v_fma_f16 v179, 0xb482, v115, v150
	v_fmac_f16_e64 v150, 0x3482, v115
	v_fma_f16 v181, 0xbbeb, v115, v127
	v_fmac_f16_e32 v127, 0x3beb, v115
	v_bfi_b32 v115, 0xffff, v151, v128
	v_fma_f16 v182, 0xb482, v117, v153
	v_fmac_f16_e64 v153, 0x3482, v117
	v_fma_f16 v184, 0xbb47, v117, v155
	v_fmac_f16_e64 v155, 0x3b47, v117
	;; [unrolled: 2-line block ×3, first 2 shown]
	v_bfi_b32 v117, 0xffff, v156, v131
	v_fma_f16 v187, 0xbbeb, v119, v158
	v_fmac_f16_e64 v158, 0x3beb, v119
	v_fma_f16 v189, 0x3853, v119, v160
	v_fmac_f16_e64 v160, 0xb853, v119
	;; [unrolled: 2-line block ×3, first 2 shown]
	v_bfi_b32 v119, 0xffff, v161, v134
	v_bfi_b32 v32, 0xffff, v111, v32
	;; [unrolled: 1-line block ×6, first 2 shown]
	v_pk_add_f16 v33, v29, v33
	v_add_f16_e64 v34, v29, v171
	v_add_f16_e64 v134, v113, v172
	v_add_f16_e64 v142, v29, v142
	v_add_f16_e64 v143, v113, v143
	v_add_f16_e64 v146, v29, v173
	v_add_f16_e64 v151, v113, v174
	v_fma_f16 v149, v114, 0xbbad, -v149
	v_fma_f16 v180, 0xb08e, v114, v126
	v_fma_f16 v114, v114, 0xb08e, -v126
	v_fma_f16 v126, 0xbbad, v116, v152
	;; [unrolled: 2-line block ×10, first 2 shown]
	v_fma_f16 v120, v120, 0x36a6, -v135
	v_pk_add_f16 v135, v29, v137 op_sel:[1,0] op_sel_hi:[0,1]
	v_pk_add_f16 v122, v122, v166
	v_add_f16_e64 v156, v29, v175
	v_add_f16_e64 v161, v113, v176
	v_alignbit_b32 v137, s0, v167, 16
	v_add_f16_e32 v112, v29, v112
	v_pk_add_f16 v121, v29, v121
	v_add_f16_e64 v144, v29, v144
	v_add_f16_e64 v145, v113, v145
	v_add_f16_e32 v113, v113, v124
	v_pk_add_f16 v31, v31, v106
	v_pk_add_f16 v29, v29, v32
	;; [unrolled: 1-line block ×3, first 2 shown]
	v_add_f16_e32 v32, v123, v34
	v_add_f16_e64 v33, v177, v134
	v_add_f16_e64 v34, v147, v142
	;; [unrolled: 1-line block ×5, first 2 shown]
	v_pk_add_f16 v124, v138, v135
	v_pk_add_f16 v122, v167, v122
	v_add_f16_e64 v142, v180, v156
	v_add_f16_e64 v143, v181, v161
	v_alignbit_b32 v166, s0, v168, 16
	v_add_f16_e32 v112, v114, v112
	v_pk_add_f16 v114, v137, v121
	v_add_f16_e64 v135, v149, v144
	v_add_f16_e64 v138, v150, v145
	v_add_f16_e32 v113, v127, v113
	v_pk_add_f16 v31, v31, v107
	v_pk_add_f16 v29, v111, v29
	;; [unrolled: 1-line block ×3, first 2 shown]
	v_add_f16_e32 v32, v126, v32
	v_add_f16_e64 v33, v182, v33
	v_add_f16_e64 v34, v152, v34
	;; [unrolled: 1-line block ×5, first 2 shown]
	v_pk_add_f16 v121, v139, v124
	v_pk_add_f16 v122, v168, v122
	v_add_f16_e64 v124, v185, v142
	v_add_f16_e64 v126, v186, v143
	v_alignbit_b32 v197, s0, v169, 16
	v_pk_add_f16 v114, v166, v114
	v_add_f16_e64 v115, v154, v135
	v_add_f16_e64 v123, v155, v138
	v_add_f16_e32 v112, v116, v112
	v_add_f16_e64 v113, v130, v113
	v_pk_add_f16 v25, v31, v25
	v_pk_add_f16 v29, v125, v29
	;; [unrolled: 1-line block ×3, first 2 shown]
	v_add_f16_e64 v31, v129, v32
	v_add_f16_e64 v32, v187, v33
	;; [unrolled: 1-line block ×6, first 2 shown]
	v_pk_add_f16 v116, v140, v121
	v_pk_add_f16 v121, v169, v122
	v_add_f16_e64 v117, v190, v124
	v_add_f16_e64 v122, v191, v126
	v_alignbit_b32 v198, s0, v170, 16
	v_pk_add_f16 v114, v197, v114
	v_add_f16_e64 v111, v159, v115
	v_add_f16_e64 v115, v160, v123
	v_add_f16_e32 v112, v118, v112
	v_add_f16_e64 v113, v133, v113
	v_pk_add_f16 v25, v25, v26
	v_pk_add_f16 v29, v128, v29
	;; [unrolled: 1-line block ×3, first 2 shown]
	v_add_f16_e64 v30, v132, v31
	v_add_f16_e64 v31, v192, v32
	;; [unrolled: 1-line block ×8, first 2 shown]
	v_pk_add_f16 v116, v141, v116
	v_pk_add_f16 v118, v170, v121
	v_pk_add_f16 v114, v198, v114
	v_add_f16_e64 v111, v164, v111
	v_add_f16_e64 v115, v165, v115
	v_add_f16_e32 v112, v120, v112
	v_add_f16_e64 v113, v136, v113
	v_pk_add_f16 v25, v25, v28
	v_pk_add_f16 v106, v131, v29
	v_pack_b32_f16 v28, v34, v107
	v_pack_b32_f16 v29, v30, v31
	;; [unrolled: 1-line block ×3, first 2 shown]
	v_alignbit_b32 v118, v118, v116, 16
	v_pack_b32_f16 v31, v114, v116
	v_pack_b32_f16 v34, v111, v115
	;; [unrolled: 1-line block ×4, first 2 shown]
	ds_store_2addr_b32 v61, v25, v26 offset1:1
	ds_store_2addr_b32 v61, v29, v28 offset0:2 offset1:3
	ds_store_b32 v61, v30 offset:16
	ds_store_2addr_b32 v61, v31, v118 offset0:5 offset1:6
	ds_store_2addr_b32 v61, v107, v34 offset0:7 offset1:8
	;; [unrolled: 1-line block ×3, first 2 shown]
	global_wb scope:SCOPE_SE
	s_wait_dscnt 0x0
	s_barrier_signal -1
	s_barrier_wait -1
	global_inv scope:SCOPE_SE
	ds_load_2addr_b32 v[29:30], v37 offset1:154
	ds_load_2addr_b32 v[25:26], v108 offset0:8 offset1:239
	ds_load_2addr_b32 v[33:34], v109 offset0:41 offset1:195
	;; [unrolled: 1-line block ×4, first 2 shown]
	v_lshrrev_b32_e32 v61, 16, v106
	s_and_saveexec_b32 s1, vcc_lo
	s_cbranch_execz .LBB0_11
; %bb.10:
	ds_load_b32 v106, v37 offset:3080
	ds_load_b32 v23, v37 offset:6468
	s_wait_dscnt 0x1
	v_lshrrev_b32_e32 v61, 16, v106
	s_wait_dscnt 0x0
	v_lshrrev_b32_e32 v105, 16, v23
.LBB0_11:
	s_wait_alu 0xfffe
	s_or_b32 exec_lo, exec_lo, s1
	s_wait_dscnt 0x3
	v_lshrrev_b32_e32 v108, 16, v26
	s_wait_dscnt 0x2
	v_lshrrev_b32_e32 v110, 16, v33
	v_lshrrev_b32_e32 v112, 16, v34
	s_wait_dscnt 0x0
	v_lshrrev_b32_e32 v115, 16, v31
	v_lshrrev_b32_e32 v117, 16, v32
	v_mul_f16_e32 v114, v80, v108
	v_mul_f16_e32 v80, v80, v26
	v_lshrrev_b32_e32 v107, 16, v29
	v_lshrrev_b32_e32 v109, 16, v30
	;; [unrolled: 1-line block ×3, first 2 shown]
	v_fmac_f16_e32 v114, v73, v26
	v_mul_f16_e32 v26, v79, v110
	v_fma_f16 v73, v73, v108, -v80
	v_mul_f16_e32 v80, v78, v112
	v_mul_f16_e32 v78, v78, v34
	;; [unrolled: 1-line block ×3, first 2 shown]
	v_fmac_f16_e32 v26, v68, v33
	v_mul_f16_e32 v33, v77, v115
	v_fmac_f16_e32 v80, v67, v34
	v_fma_f16 v34, v67, v112, -v78
	v_mul_f16_e32 v67, v77, v31
	v_mul_f16_e32 v77, v75, v105
	v_fmac_f16_e32 v33, v66, v31
	v_mul_f16_e32 v31, v76, v117
	v_mul_f16_e32 v76, v76, v32
	v_fma_f16 v66, v66, v115, -v67
	v_mul_f16_e32 v67, v75, v23
	v_fma_f16 v68, v68, v110, -v79
	v_lshrrev_b32_e32 v113, 16, v28
	v_lshrrev_b32_e32 v116, 16, v25
	v_fmac_f16_e32 v31, v65, v32
	v_fma_f16 v32, v65, v117, -v76
	v_fmac_f16_e32 v77, v64, v23
	v_sub_f16_e32 v65, v29, v114
	v_fma_f16 v64, v64, v105, -v67
	v_sub_f16_e32 v67, v107, v73
	v_sub_f16_e32 v26, v30, v26
	;; [unrolled: 1-line block ×9, first 2 shown]
	v_fma_f16 v29, v29, 2.0, -v65
	v_fma_f16 v75, v107, 2.0, -v67
	;; [unrolled: 1-line block ×10, first 2 shown]
	v_sub_f16_e32 v23, v106, v77
	v_sub_f16_e32 v25, v61, v64
	v_pack_b32_f16 v29, v29, v75
	v_pack_b32_f16 v64, v65, v67
	;; [unrolled: 1-line block ×10, first 2 shown]
	global_wb scope:SCOPE_SE
	s_barrier_signal -1
	s_barrier_wait -1
	global_inv scope:SCOPE_SE
	ds_store_2addr_b32 v74, v29, v64 offset1:11
	ds_store_2addr_b32 v69, v30, v26 offset1:11
	;; [unrolled: 1-line block ×5, first 2 shown]
	s_and_saveexec_b32 s1, vcc_lo
	s_cbranch_execz .LBB0_13
; %bb.12:
	v_mad_u16 v26, v62, 22, v63
	v_fma_f16 v27, v106, 2.0, -v23
	v_fma_f16 v28, v61, 2.0, -v25
	s_delay_alu instid0(VALU_DEP_3) | instskip(NEXT) | instid1(VALU_DEP_2)
	v_and_b32_e32 v26, 0xffff, v26
	v_pack_b32_f16 v27, v27, v28
	v_perm_b32 v28, v25, v23, 0x5040100
	s_delay_alu instid0(VALU_DEP_3)
	v_lshlrev_b32_e32 v26, 2, v26
	ds_store_2addr_b32 v26, v27, v28 offset1:11
.LBB0_13:
	s_wait_alu 0xfffe
	s_or_b32 exec_lo, exec_lo, s1
	v_add_nc_u32_e32 v28, 0x400, v37
	global_wb scope:SCOPE_SE
	s_wait_dscnt 0x0
	s_barrier_signal -1
	s_barrier_wait -1
	global_inv scope:SCOPE_SE
	ds_load_2addr_b32 v[26:27], v37 offset1:154
	ds_load_2addr_b32 v[28:29], v28 offset0:52 offset1:206
	v_add_nc_u32_e32 v30, 0x900, v37
	v_add_nc_u32_e32 v32, 0xe00, v37
	;; [unrolled: 1-line block ×3, first 2 shown]
	ds_load_b32 v34, v37 offset:6160
	ds_load_2addr_b32 v[30:31], v30 offset0:40 offset1:194
	ds_load_2addr_b32 v[32:33], v32 offset0:28 offset1:182
	;; [unrolled: 1-line block ×3, first 2 shown]
	global_wb scope:SCOPE_SE
	s_wait_dscnt 0x0
	s_barrier_signal -1
	s_barrier_wait -1
	global_inv scope:SCOPE_SE
	v_lshrrev_b32_e32 v64, 16, v27
	v_mul_f16_e32 v66, v104, v27
	v_lshrrev_b32_e32 v67, 16, v28
	v_lshrrev_b32_e32 v63, 16, v26
	;; [unrolled: 1-line block ×5, first 2 shown]
	v_mul_f16_e32 v75, v104, v64
	v_fma_f16 v64, v4, v64, -v66
	v_mul_f16_e32 v66, v101, v28
	v_mul_f16_e32 v77, v101, v67
	v_lshrrev_b32_e32 v71, 16, v32
	v_fmac_f16_e32 v75, v4, v27
	v_mul_f16_e32 v76, v100, v29
	v_fma_f16 v27, v5, v67, -v66
	v_mul_f16_e32 v66, v99, v69
	v_fmac_f16_e32 v77, v5, v28
	v_mul_f16_e32 v5, v99, v30
	v_mul_f16_e32 v28, v98, v70
	v_mul_f16_e32 v4, v100, v68
	v_fmac_f16_e32 v66, v7, v30
	v_add_f16_e32 v30, v26, v75
	v_fma_f16 v5, v7, v69, -v5
	v_mul_f16_e32 v7, v98, v31
	v_fmac_f16_e32 v28, v0, v31
	v_add_f16_e32 v31, v63, v64
	v_fmac_f16_e32 v4, v6, v29
	v_fma_f16 v6, v6, v68, -v76
	v_mul_f16_e32 v29, v96, v71
	v_fma_f16 v0, v0, v70, -v7
	v_mul_f16_e32 v7, v96, v32
	v_add_f16_e32 v30, v30, v77
	v_add_f16_e32 v31, v31, v27
	v_fmac_f16_e32 v29, v1, v32
	v_lshrrev_b32_e32 v72, 16, v33
	v_fma_f16 v1, v1, v71, -v7
	v_add_f16_e32 v7, v30, v4
	v_add_f16_e32 v30, v31, v6
	v_lshrrev_b32_e32 v73, 16, v61
	v_lshrrev_b32_e32 v74, 16, v62
	v_mul_f16_e32 v32, v95, v72
	v_mul_f16_e32 v67, v95, v33
	v_add_f16_e32 v30, v30, v5
	v_mul_f16_e32 v31, v94, v73
	v_add_f16_e32 v7, v7, v66
	v_fmac_f16_e32 v32, v2, v33
	v_fma_f16 v2, v2, v72, -v67
	v_add_f16_e32 v30, v30, v0
	v_mul_f16_e32 v33, v94, v61
	v_mul_f16_e32 v67, v92, v74
	v_lshrrev_b32_e32 v65, 16, v34
	v_fmac_f16_e32 v31, v3, v61
	v_add_f16_e32 v30, v30, v1
	v_add_f16_e32 v7, v7, v28
	v_fma_f16 v3, v3, v73, -v33
	v_fmac_f16_e32 v67, v17, v62
	v_mul_f16_e32 v33, v93, v34
	v_mul_f16_e32 v62, v92, v62
	v_add_f16_e32 v30, v30, v2
	v_add_f16_e32 v7, v7, v29
	v_mul_f16_e32 v61, v93, v65
	v_fma_f16 v33, v18, v65, -v33
	v_fma_f16 v17, v17, v74, -v62
	v_add_f16_e32 v30, v30, v3
	v_add_f16_e32 v7, v7, v32
	v_fmac_f16_e32 v61, v18, v34
	v_sub_f16_e32 v18, v64, v33
	v_add_f16_e32 v62, v64, v33
	v_add_f16_e32 v30, v30, v17
	;; [unrolled: 1-line block ×4, first 2 shown]
	v_mul_f16_e32 v64, 0xb853, v18
	v_sub_f16_e32 v65, v75, v61
	v_mul_f16_e32 v68, 0x3abb, v62
	v_add_f16_e32 v30, v30, v33
	v_mul_f16_e32 v33, 0xbb47, v18
	v_mul_f16_e32 v71, 0x36a6, v62
	v_mul_f16_e32 v72, 0xbbeb, v18
	v_mul_f16_e32 v74, 0xb08e, v62
	v_mul_f16_e32 v78, 0xba0c, v18
	v_mul_f16_e32 v79, 0xb93d, v62
	v_mul_f16_e32 v18, 0xb482, v18
	v_mul_f16_e32 v62, 0xbbad, v62
	v_sub_f16_e32 v94, v27, v17
	v_add_f16_e32 v7, v7, v67
	v_fmamk_f16 v69, v34, 0x3abb, v64
	v_fma_f16 v64, v34, 0x3abb, -v64
	v_fmamk_f16 v70, v34, 0x36a6, v33
	v_fma_f16 v33, v34, 0x36a6, -v33
	;; [unrolled: 2-line block ×4, first 2 shown]
	v_fmamk_f16 v93, v34, 0xbbad, v18
	v_fmamk_f16 v95, v65, 0x3482, v62
	v_fma_f16 v18, v34, 0xbbad, -v18
	v_add_f16_e32 v17, v27, v17
	v_add_f16_e32 v27, v77, v67
	v_mul_f16_e32 v34, 0xbb47, v94
	v_add_f16_e32 v7, v7, v61
	v_fmamk_f16 v61, v65, 0x3853, v68
	v_add_f16_e32 v69, v26, v69
	v_fmac_f16_e32 v68, 0xb853, v65
	v_fmamk_f16 v73, v65, 0x3b47, v71
	v_fmac_f16_e32 v71, 0xbb47, v65
	v_fmamk_f16 v76, v65, 0x3beb, v74
	;; [unrolled: 2-line block ×3, first 2 shown]
	v_fmac_f16_e32 v79, 0xba0c, v65
	v_fmac_f16_e32 v62, 0xb482, v65
	v_sub_f16_e32 v65, v77, v67
	v_mul_f16_e32 v67, 0x36a6, v17
	v_add_f16_e32 v77, v63, v95
	v_fmamk_f16 v95, v27, 0x36a6, v34
	v_add_f16_e32 v61, v63, v61
	v_add_f16_e32 v64, v26, v64
	;; [unrolled: 1-line block ×18, first 2 shown]
	v_fmamk_f16 v62, v65, 0x3b47, v67
	v_mul_f16_e32 v63, 0xba0c, v94
	v_add_f16_e32 v69, v95, v69
	v_fma_f16 v34, v27, 0x36a6, -v34
	v_fmac_f16_e32 v67, 0xbb47, v65
	v_mul_f16_e32 v95, 0xb93d, v17
	v_add_f16_e32 v61, v62, v61
	v_fmamk_f16 v62, v27, 0xb93d, v63
	v_add_f16_e32 v34, v34, v64
	v_add_f16_e32 v64, v67, v68
	v_mul_f16_e32 v67, 0x3482, v94
	v_fmamk_f16 v68, v65, 0x3a0c, v95
	v_fma_f16 v63, v27, 0xb93d, -v63
	v_fmac_f16_e32 v95, 0xba0c, v65
	v_mul_f16_e32 v96, 0xbbad, v17
	v_add_f16_e32 v62, v62, v70
	v_fmamk_f16 v70, v27, 0xbbad, v67
	v_add_f16_e32 v68, v68, v73
	v_add_f16_e32 v33, v63, v33
	;; [unrolled: 1-line block ×3, first 2 shown]
	v_fmamk_f16 v71, v65, 0xb482, v96
	v_mul_f16_e32 v73, 0x3beb, v94
	v_add_f16_e32 v70, v70, v75
	v_fma_f16 v67, v27, 0xbbad, -v67
	v_mul_f16_e32 v75, 0xb08e, v17
	v_add_f16_e32 v71, v71, v76
	v_fmamk_f16 v76, v27, 0xb08e, v73
	v_mul_f16_e32 v94, 0x3853, v94
	v_fma_f16 v73, v27, 0xb08e, -v73
	v_add_f16_e32 v67, v67, v72
	v_fmamk_f16 v72, v65, 0xbbeb, v75
	v_add_f16_e32 v76, v76, v80
	v_fmac_f16_e32 v75, 0x3beb, v65
	v_fmamk_f16 v80, v27, 0x3abb, v94
	v_add_f16_e32 v73, v73, v78
	v_sub_f16_e32 v78, v6, v3
	v_add_f16_e32 v72, v72, v92
	v_mul_f16_e32 v17, 0x3abb, v17
	v_add_f16_e32 v75, v75, v79
	v_add_f16_e32 v79, v80, v93
	;; [unrolled: 1-line block ×3, first 2 shown]
	v_mul_f16_e32 v93, 0xbbeb, v78
	v_add_f16_e32 v3, v6, v3
	v_fmamk_f16 v80, v65, 0xb853, v17
	v_fma_f16 v6, v27, 0x3abb, -v94
	v_fmac_f16_e32 v17, 0x3853, v65
	v_sub_f16_e32 v4, v4, v31
	v_fmamk_f16 v27, v92, 0xb08e, v93
	v_mul_f16_e32 v31, 0xb08e, v3
	v_fmac_f16_e32 v96, 0x3482, v65
	v_add_f16_e32 v65, v80, v77
	v_add_f16_e32 v6, v6, v18
	;; [unrolled: 1-line block ×4, first 2 shown]
	v_fmamk_f16 v26, v4, 0x3beb, v31
	v_mul_f16_e32 v27, 0x3482, v78
	v_fma_f16 v69, v92, 0xb08e, -v93
	v_fmac_f16_e32 v31, 0xbbeb, v4
	v_mul_f16_e32 v77, 0xbbad, v3
	v_add_f16_e32 v26, v26, v61
	v_fmamk_f16 v61, v92, 0xbbad, v27
	v_add_f16_e32 v34, v69, v34
	v_add_f16_e32 v31, v31, v64
	v_fmamk_f16 v64, v4, 0xb482, v77
	v_mul_f16_e32 v69, 0x3b47, v78
	v_add_f16_e32 v61, v61, v62
	v_fma_f16 v27, v92, 0xbbad, -v27
	v_fmac_f16_e32 v77, 0x3482, v4
	v_add_f16_e32 v62, v64, v68
	v_fmamk_f16 v64, v92, 0x36a6, v69
	v_mul_f16_e32 v68, 0x36a6, v3
	v_add_f16_e32 v27, v27, v33
	v_add_f16_e32 v33, v77, v63
	v_mul_f16_e32 v63, 0xb853, v78
	v_add_f16_e32 v64, v64, v70
	v_fmamk_f16 v70, v4, 0xbb47, v68
	v_mul_f16_e32 v80, 0x3abb, v3
	v_add_f16_e32 v74, v96, v74
	v_fma_f16 v69, v92, 0x36a6, -v69
	v_fmac_f16_e32 v68, 0x3b47, v4
	v_fmamk_f16 v77, v92, 0x3abb, v63
	v_add_f16_e32 v70, v70, v71
	v_fmamk_f16 v71, v4, 0x3853, v80
	v_mul_f16_e32 v3, 0xb93d, v3
	v_fma_f16 v63, v92, 0x3abb, -v63
	v_fmac_f16_e32 v80, 0xb853, v4
	v_add_f16_e32 v67, v69, v67
	v_add_f16_e32 v68, v68, v74
	;; [unrolled: 1-line block ×3, first 2 shown]
	v_mul_f16_e32 v74, 0xba0c, v78
	v_fmamk_f16 v76, v4, 0x3a0c, v3
	v_add_f16_e32 v63, v63, v73
	v_add_f16_e32 v73, v80, v75
	v_sub_f16_e32 v75, v5, v2
	v_add_f16_e32 v2, v5, v2
	v_add_f16_e32 v71, v71, v72
	v_fmamk_f16 v72, v92, 0xb93d, v74
	v_add_f16_e32 v65, v76, v65
	v_add_f16_e32 v76, v66, v32
	v_mul_f16_e32 v5, 0xba0c, v75
	v_fma_f16 v74, v92, 0xb93d, -v74
	v_fmac_f16_e32 v3, 0xba0c, v4
	v_sub_f16_e32 v4, v66, v32
	v_mul_f16_e32 v32, 0xb93d, v2
	v_fmamk_f16 v66, v76, 0xb93d, v5
	v_add_f16_e32 v6, v74, v6
	v_add_f16_e32 v3, v3, v17
	v_mul_f16_e32 v17, 0x3beb, v75
	v_fmamk_f16 v74, v4, 0x3a0c, v32
	v_add_f16_e32 v18, v66, v18
	v_fma_f16 v5, v76, 0xb93d, -v5
	v_fmac_f16_e32 v32, 0xba0c, v4
	v_fmamk_f16 v66, v76, 0xb08e, v17
	v_add_f16_e32 v26, v74, v26
	v_mul_f16_e32 v74, 0xb08e, v2
	v_add_f16_e32 v5, v5, v34
	v_add_f16_e32 v31, v32, v31
	;; [unrolled: 1-line block ×3, first 2 shown]
	v_mul_f16_e32 v34, 0xb853, v75
	v_fmamk_f16 v61, v4, 0xbbeb, v74
	v_fma_f16 v17, v76, 0xb08e, -v17
	v_fmac_f16_e32 v74, 0x3beb, v4
	v_mul_f16_e32 v66, 0x3abb, v2
	v_fmamk_f16 v77, v76, 0x3abb, v34
	v_add_f16_e32 v61, v61, v62
	v_add_f16_e32 v17, v17, v27
	;; [unrolled: 1-line block ×3, first 2 shown]
	v_fmamk_f16 v33, v4, 0x3853, v66
	v_add_f16_e32 v62, v77, v64
	v_mul_f16_e32 v64, 0xb482, v75
	v_fma_f16 v34, v76, 0x3abb, -v34
	v_fmac_f16_e32 v66, 0xb853, v4
	v_add_f16_e32 v33, v33, v70
	v_mul_f16_e32 v70, 0xbbad, v2
	v_fmamk_f16 v74, v76, 0xbbad, v64
	v_add_f16_e32 v34, v34, v67
	v_add_f16_e32 v66, v66, v68
	v_mul_f16_e32 v67, 0x3b47, v75
	v_fmamk_f16 v68, v4, 0x3482, v70
	v_add_f16_e32 v72, v72, v79
	v_add_f16_e32 v69, v74, v69
	v_fma_f16 v64, v76, 0xbbad, -v64
	v_fmac_f16_e32 v70, 0xb482, v4
	v_fmamk_f16 v74, v76, 0x36a6, v67
	v_add_f16_e32 v68, v68, v71
	v_mul_f16_e32 v2, 0x36a6, v2
	v_sub_f16_e32 v71, v0, v1
	v_add_f16_e32 v0, v0, v1
	v_add_f16_e32 v63, v64, v63
	;; [unrolled: 1-line block ×4, first 2 shown]
	v_fmamk_f16 v72, v4, 0xbb47, v2
	v_fma_f16 v67, v76, 0x36a6, -v67
	v_add_f16_e32 v73, v28, v29
	v_mul_f16_e32 v1, 0xb482, v71
	v_fmac_f16_e32 v2, 0x3b47, v4
	v_sub_f16_e32 v4, v28, v29
	v_mul_f16_e32 v28, 0xbbad, v0
	v_add_f16_e32 v65, v72, v65
	v_fmamk_f16 v29, v73, 0xbbad, v1
	v_add_f16_e32 v6, v67, v6
	v_add_f16_e32 v67, v2, v3
	v_fmamk_f16 v2, v4, 0x3482, v28
	v_mul_f16_e32 v72, 0x3853, v71
	v_fma_f16 v1, v73, 0xbbad, -v1
	v_add_f16_e32 v18, v29, v18
	v_fmac_f16_e32 v28, 0xb482, v4
	v_add_f16_e32 v74, v2, v26
	v_fmamk_f16 v2, v73, 0x3abb, v72
	v_mul_f16_e32 v29, 0x3abb, v0
	v_add_f16_e32 v3, v1, v5
	v_mul_f16_e32 v1, 0xba0c, v71
	v_add_f16_e32 v26, v28, v31
	v_add_f16_e32 v5, v2, v32
	v_fmamk_f16 v2, v4, 0xb853, v29
	v_fma_f16 v28, v73, 0x3abb, -v72
	v_fmamk_f16 v31, v73, 0xb93d, v1
	v_mul_f16_e32 v32, 0xb93d, v0
	v_fmac_f16_e32 v29, 0x3853, v4
	v_add_f16_e32 v61, v2, v61
	v_add_f16_e32 v2, v28, v17
	;; [unrolled: 1-line block ×3, first 2 shown]
	v_fmamk_f16 v28, v4, 0x3a0c, v32
	v_mul_f16_e32 v31, 0x3b47, v71
	v_fma_f16 v1, v73, 0xb93d, -v1
	v_fmac_f16_e32 v32, 0xba0c, v4
	v_mul_f16_e32 v62, 0x36a6, v0
	v_add_f16_e32 v33, v28, v33
	v_fmamk_f16 v28, v73, 0x36a6, v31
	v_add_f16_e32 v27, v29, v27
	v_add_f16_e32 v1, v1, v34
	;; [unrolled: 1-line block ×3, first 2 shown]
	v_fma_f16 v31, v73, 0x36a6, -v31
	v_add_f16_e32 v34, v28, v69
	v_mul_f16_e32 v28, 0xbbeb, v71
	v_mul_f16_e32 v66, 0xb08e, v0
	v_fmamk_f16 v32, v4, 0xbb47, v62
	v_add_f16_e32 v0, v31, v63
	v_fmac_f16_e32 v62, 0x3b47, v4
	v_fmamk_f16 v31, v73, 0xb08e, v28
	v_fmamk_f16 v63, v4, 0x3beb, v66
	v_add_f16_e32 v32, v32, v68
	v_fma_f16 v68, v73, 0xb08e, -v28
	v_fmac_f16_e32 v66, 0xbbeb, v4
	v_pack_b32_f16 v7, v7, v30
	v_pack_b32_f16 v18, v18, v74
	v_add_f16_e32 v4, v31, v70
	v_add_f16_e32 v31, v63, v65
	;; [unrolled: 1-line block ×5, first 2 shown]
	ds_store_2addr_b32 v81, v7, v18 offset1:22
	v_pack_b32_f16 v5, v5, v61
	v_pack_b32_f16 v7, v17, v33
	v_pack_b32_f16 v17, v34, v32
	v_pack_b32_f16 v4, v4, v31
	v_pack_b32_f16 v6, v6, v62
	v_pack_b32_f16 v18, v0, v28
	v_pack_b32_f16 v30, v1, v29
	v_pack_b32_f16 v31, v2, v27
	v_pack_b32_f16 v32, v3, v26
	ds_store_2addr_b32 v81, v5, v7 offset0:44 offset1:66
	ds_store_2addr_b32 v81, v17, v4 offset0:88 offset1:110
	;; [unrolled: 1-line block ×4, first 2 shown]
	ds_store_b32 v81, v32 offset:880
	v_add_nc_u32_e32 v30, 0x780, v37
	v_add_nc_u32_e32 v31, 0xf00, v37
	global_wb scope:SCOPE_SE
	s_wait_dscnt 0x0
	s_barrier_signal -1
	s_barrier_wait -1
	global_inv scope:SCOPE_SE
	ds_load_2addr_b32 v[4:5], v37 offset1:242
	ds_load_2addr_b32 v[17:18], v30 offset0:4 offset1:246
	ds_load_2addr_b32 v[6:7], v31 offset0:8 offset1:250
	ds_load_b32 v32, v37 offset:5808
	s_and_saveexec_b32 s1, s0
	s_cbranch_execz .LBB0_15
; %bb.14:
	v_add_nc_u32_e32 v0, 0x240, v37
	v_add_nc_u32_e32 v2, 0x9e0, v37
	;; [unrolled: 1-line block ×3, first 2 shown]
	ds_load_2addr_b32 v[0:1], v0 offset0:10 offset1:252
	ds_load_2addr_b32 v[2:3], v2 offset0:6 offset1:248
	;; [unrolled: 1-line block ×3, first 2 shown]
	ds_load_b32 v102, v37 offset:6424
	s_wait_dscnt 0x3
	v_lshrrev_b32_e32 v28, 16, v0
	v_lshrrev_b32_e32 v29, 16, v1
	s_wait_dscnt 0x2
	v_lshrrev_b32_e32 v27, 16, v2
	v_lshrrev_b32_e32 v26, 16, v3
	;; [unrolled: 3-line block ×3, first 2 shown]
	s_wait_dscnt 0x0
	v_lshrrev_b32_e32 v103, 16, v102
.LBB0_15:
	s_wait_alu 0xfffe
	s_or_b32 exec_lo, exec_lo, s1
	s_wait_dscnt 0x3
	v_lshrrev_b32_e32 v33, 16, v5
	s_wait_dscnt 0x2
	v_lshrrev_b32_e32 v61, 16, v17
	v_lshrrev_b32_e32 v62, 16, v18
	v_mul_f16_e32 v63, v91, v5
	s_wait_dscnt 0x1
	v_lshrrev_b32_e32 v65, 16, v6
	v_mul_f16_e32 v64, v91, v33
	v_lshrrev_b32_e32 v66, 16, v7
	s_wait_dscnt 0x0
	v_lshrrev_b32_e32 v67, 16, v32
	v_fma_f16 v33, v12, v33, -v63
	v_mul_f16_e32 v63, v89, v62
	v_fmac_f16_e32 v64, v12, v5
	v_mul_f16_e32 v5, v90, v61
	v_mul_f16_e32 v12, v90, v17
	;; [unrolled: 1-line block ×4, first 2 shown]
	v_fmac_f16_e32 v63, v14, v18
	v_fmac_f16_e32 v5, v13, v17
	v_fma_f16 v12, v13, v61, -v12
	v_fma_f16 v13, v14, v62, -v68
	v_mul_f16_e32 v14, v88, v67
	v_mul_f16_e32 v17, v88, v32
	;; [unrolled: 1-line block ×4, first 2 shown]
	v_fmac_f16_e32 v69, v15, v6
	v_mul_f16_e32 v6, v87, v6
	v_fmac_f16_e32 v14, v22, v32
	v_fma_f16 v17, v22, v67, -v17
	v_fmac_f16_e32 v18, v21, v7
	v_fma_f16 v7, v21, v66, -v61
	v_fma_f16 v6, v15, v65, -v6
	v_add_f16_e32 v15, v64, v14
	v_add_f16_e32 v21, v33, v17
	;; [unrolled: 1-line block ×4, first 2 shown]
	v_sub_f16_e32 v17, v33, v17
	v_sub_f16_e32 v5, v5, v18
	;; [unrolled: 1-line block ×3, first 2 shown]
	v_add_f16_e32 v12, v63, v69
	v_add_f16_e32 v18, v13, v6
	v_sub_f16_e32 v33, v69, v63
	v_sub_f16_e32 v6, v6, v13
	v_add_f16_e32 v13, v22, v15
	v_add_f16_e32 v61, v32, v21
	v_sub_f16_e32 v14, v64, v14
	v_lshrrev_b32_e32 v34, 16, v4
	v_sub_f16_e32 v62, v22, v15
	v_sub_f16_e32 v63, v32, v21
	v_sub_f16_e32 v15, v15, v12
	v_sub_f16_e32 v21, v21, v18
	v_sub_f16_e32 v22, v12, v22
	v_sub_f16_e32 v32, v18, v32
	v_add_f16_e32 v64, v33, v5
	v_add_f16_e32 v65, v6, v7
	v_sub_f16_e32 v66, v33, v5
	v_sub_f16_e32 v67, v6, v7
	v_add_f16_e32 v12, v12, v13
	v_add_f16_e32 v13, v18, v61
	v_sub_f16_e32 v5, v5, v14
	v_sub_f16_e32 v7, v7, v17
	;; [unrolled: 1-line block ×4, first 2 shown]
	v_add_f16_e32 v14, v64, v14
	v_add_f16_e32 v17, v65, v17
	;; [unrolled: 1-line block ×4, first 2 shown]
	v_mul_f16_e32 v15, 0x3a52, v15
	v_mul_f16_e32 v21, 0x3a52, v21
	;; [unrolled: 1-line block ×8, first 2 shown]
	v_fmamk_f16 v12, v12, 0xbcab, v4
	v_fmamk_f16 v13, v13, 0xbcab, v18
	;; [unrolled: 1-line block ×4, first 2 shown]
	v_fma_f16 v34, v62, 0x39e0, -v34
	v_fma_f16 v61, v63, 0x39e0, -v61
	;; [unrolled: 1-line block ×4, first 2 shown]
	v_fmamk_f16 v62, v33, 0xb574, v64
	v_fmamk_f16 v63, v6, 0xb574, v65
	v_fma_f16 v5, v5, 0xbb00, -v64
	v_fma_f16 v7, v7, 0xbb00, -v65
	;; [unrolled: 1-line block ×4, first 2 shown]
	v_add_f16_e32 v22, v22, v12
	v_add_f16_e32 v32, v32, v13
	v_fmac_f16_e32 v62, 0xb70e, v14
	v_fmac_f16_e32 v63, 0xb70e, v17
	v_add_f16_e32 v34, v34, v12
	v_add_f16_e32 v61, v61, v13
	;; [unrolled: 1-line block ×4, first 2 shown]
	v_fmac_f16_e32 v5, 0xb70e, v14
	v_fmac_f16_e32 v6, 0xb70e, v17
	;; [unrolled: 1-line block ×4, first 2 shown]
	v_add_f16_e32 v14, v63, v22
	v_sub_f16_e32 v15, v32, v62
	v_add_f16_e32 v17, v6, v12
	v_sub_f16_e32 v21, v13, v33
	v_sub_f16_e32 v64, v34, v7
	v_add_f16_e32 v65, v5, v61
	v_add_f16_e32 v7, v7, v34
	v_sub_f16_e32 v5, v61, v5
	v_sub_f16_e32 v6, v12, v6
	v_add_f16_e32 v12, v33, v13
	v_sub_f16_e32 v13, v22, v63
	v_add_f16_e32 v22, v62, v32
	v_pack_b32_f16 v4, v4, v18
	v_pack_b32_f16 v14, v14, v15
	;; [unrolled: 1-line block ×7, first 2 shown]
	ds_store_2addr_b32 v37, v4, v14 offset1:242
	ds_store_2addr_b32 v30, v15, v17 offset0:4 offset1:246
	ds_store_2addr_b32 v31, v5, v6 offset0:8 offset1:250
	ds_store_b32 v37, v7 offset:5808
	s_and_saveexec_b32 s1, s0
	s_cbranch_execz .LBB0_17
; %bb.16:
	v_mul_f16_e32 v4, v84, v29
	v_mul_f16_e32 v5, v36, v25
	;; [unrolled: 1-line block ×6, first 2 shown]
	v_fmac_f16_e32 v5, v11, v23
	v_fmac_f16_e32 v6, v10, v3
	;; [unrolled: 1-line block ×6, first 2 shown]
	v_mul_f16_e32 v17, v85, v102
	v_mul_f16_e32 v1, v84, v1
	;; [unrolled: 1-line block ×4, first 2 shown]
	v_sub_f16_e32 v14, v5, v6
	v_sub_f16_e32 v15, v7, v12
	;; [unrolled: 1-line block ×3, first 2 shown]
	v_fma_f16 v17, v20, v103, -v17
	v_fma_f16 v1, v8, v29, -v1
	v_mul_f16_e32 v3, v35, v3
	v_mul_f16_e32 v8, v36, v23
	v_fma_f16 v19, v19, v97, -v22
	v_fma_f16 v2, v9, v27, -v2
	v_sub_f16_e32 v21, v14, v15
	v_sub_f16_e32 v20, v18, v14
	v_add_f16_e32 v9, v14, v15
	v_add_f16_e32 v14, v17, v1
	v_fma_f16 v3, v10, v26, -v3
	v_fma_f16 v8, v11, v25, -v8
	v_add_f16_e32 v10, v19, v2
	v_add_f16_e32 v4, v13, v4
	;; [unrolled: 1-line block ×6, first 2 shown]
	v_sub_f16_e32 v3, v8, v3
	v_sub_f16_e32 v2, v2, v19
	;; [unrolled: 1-line block ×4, first 2 shown]
	v_add_f16_e32 v23, v22, v23
	v_sub_f16_e32 v12, v22, v10
	v_add_f16_e32 v22, v7, v4
	v_sub_f16_e32 v1, v1, v17
	v_mul_f16_e32 v8, 0x3a52, v25
	v_sub_f16_e32 v17, v3, v2
	v_mul_f16_e32 v13, 0x3a52, v24
	v_add_f16_e32 v22, v5, v22
	v_sub_f16_e32 v5, v5, v7
	v_sub_f16_e32 v25, v1, v3
	;; [unrolled: 1-line block ×3, first 2 shown]
	v_add_f16_e32 v3, v3, v2
	v_add_f16_e32 v0, v0, v22
	v_sub_f16_e32 v10, v10, v14
	v_sub_f16_e32 v2, v2, v1
	v_mul_f16_e32 v21, 0x3846, v21
	v_add_f16_e32 v6, v28, v23
	v_fmamk_f16 v19, v5, 0x2b26, v8
	v_fmamk_f16 v22, v22, 0xbcab, v0
	v_mul_f16_e32 v17, 0x3846, v17
	v_mul_f16_e32 v24, 0x2b26, v12
	v_fmamk_f16 v12, v12, 0x2b26, v13
	v_mul_f16_e32 v5, 0x2b26, v5
	v_mul_f16_e32 v27, 0xbb00, v15
	v_sub_f16_e32 v4, v7, v4
	v_fma_f16 v7, v10, 0xb9e0, -v13
	v_mul_f16_e32 v13, 0xbb00, v2
	v_fmamk_f16 v11, v20, 0xb574, v21
	v_add_f16_e32 v9, v9, v18
	v_fmamk_f16 v23, v23, 0xbcab, v6
	v_add_f16_e32 v18, v19, v22
	;; [unrolled: 2-line block ×3, first 2 shown]
	v_fma_f16 v3, v20, 0x3574, -v27
	v_fma_f16 v8, v4, 0xb9e0, -v8
	;; [unrolled: 1-line block ×7, first 2 shown]
	v_fmac_f16_e32 v11, 0xb70e, v9
	v_add_f16_e32 v12, v12, v23
	v_fmac_f16_e32 v19, 0xb70e, v1
	v_fmac_f16_e32 v3, 0xb70e, v9
	v_add_f16_e32 v7, v7, v23
	v_add_f16_e32 v8, v8, v22
	v_fmac_f16_e32 v13, 0xb70e, v1
	v_add_f16_e32 v5, v10, v23
	v_fmac_f16_e32 v14, 0xb70e, v9
	v_fmac_f16_e32 v2, 0xb70e, v1
	v_add_f16_e32 v1, v4, v22
	v_add_f16_e32 v26, v11, v12
	v_sub_f16_e32 v11, v12, v11
	v_add_f16_e32 v12, v19, v18
	v_add_f16_e32 v9, v3, v7
	v_sub_f16_e32 v15, v5, v14
	;; [unrolled: 3-line block ×3, first 2 shown]
	v_add_f16_e32 v7, v13, v8
	v_sub_f16_e32 v1, v1, v2
	v_sub_f16_e32 v10, v8, v13
	;; [unrolled: 1-line block ×3, first 2 shown]
	v_pack_b32_f16 v0, v0, v6
	v_pack_b32_f16 v2, v12, v11
	v_add_nc_u32_e32 v6, 0x240, v37
	v_pack_b32_f16 v3, v7, v3
	v_pack_b32_f16 v1, v1, v5
	v_add_nc_u32_e32 v5, 0x9e0, v37
	;; [unrolled: 3-line block ×3, first 2 shown]
	v_pack_b32_f16 v4, v4, v26
	ds_store_2addr_b32 v6, v0, v2 offset0:10 offset1:252
	ds_store_2addr_b32 v5, v3, v1 offset0:6 offset1:248
	;; [unrolled: 1-line block ×3, first 2 shown]
	ds_store_b32 v37, v4 offset:6424
.LBB0_17:
	s_wait_alu 0xfffe
	s_or_b32 exec_lo, exec_lo, s1
	global_wb scope:SCOPE_SE
	s_wait_dscnt 0x0
	s_barrier_signal -1
	s_barrier_wait -1
	global_inv scope:SCOPE_SE
	ds_load_2addr_b32 v[0:1], v37 offset1:154
	v_mad_co_u64_u32 v[14:15], null, s4, v54, 0
	v_add_nc_u32_e32 v2, 0x400, v37
	s_mov_b32 s8, 0xe9078e5b
	s_mov_b32 s9, 0x3f4357f3
	ds_load_2addr_b32 v[2:3], v2 offset0:52 offset1:206
	s_wait_dscnt 0x1
	v_lshrrev_b32_e32 v4, 16, v0
	v_mul_f16_e32 v5, v60, v0
	v_lshrrev_b32_e32 v6, 16, v1
	v_mul_f16_e32 v7, v59, v1
	s_delay_alu instid0(VALU_DEP_4) | instskip(NEXT) | instid1(VALU_DEP_4)
	v_mul_f16_e32 v8, v60, v4
	v_fma_f16 v5, v57, v4, -v5
	s_delay_alu instid0(VALU_DEP_4) | instskip(NEXT) | instid1(VALU_DEP_4)
	v_mul_f16_e32 v9, v59, v6
	v_fma_f16 v4, v56, v6, -v7
	s_wait_dscnt 0x0
	v_lshrrev_b32_e32 v10, 16, v2
	v_fmac_f16_e32 v8, v57, v0
	v_cvt_f32_f16_e32 v5, v5
	v_fmac_f16_e32 v9, v56, v1
	v_cvt_f32_f16_e32 v0, v4
	v_mul_f16_e32 v11, v58, v10
	v_cvt_f32_f16_e32 v8, v8
	v_cvt_f64_f32_e32 v[4:5], v5
	s_delay_alu instid0(VALU_DEP_4) | instskip(NEXT) | instid1(VALU_DEP_4)
	v_cvt_f64_f32_e32 v[6:7], v0
	v_fmac_f16_e32 v11, v55, v2
	s_delay_alu instid0(VALU_DEP_4) | instskip(SKIP_2) | instid1(VALU_DEP_4)
	v_cvt_f64_f32_e32 v[0:1], v8
	v_cvt_f32_f16_e32 v8, v9
	v_mul_f16_e32 v2, v58, v2
	v_cvt_f32_f16_e32 v12, v11
	s_delay_alu instid0(VALU_DEP_3) | instskip(NEXT) | instid1(VALU_DEP_3)
	v_cvt_f64_f32_e32 v[8:9], v8
	v_fma_f16 v2, v55, v10, -v2
	v_mad_co_u64_u32 v[10:11], null, s6, v16, 0
	s_delay_alu instid0(VALU_DEP_4) | instskip(NEXT) | instid1(VALU_DEP_3)
	v_cvt_f64_f32_e32 v[12:13], v12
	v_cvt_f32_f16_e32 v2, v2
	s_delay_alu instid0(VALU_DEP_1) | instskip(NEXT) | instid1(VALU_DEP_4)
	v_cvt_f64_f32_e32 v[17:18], v2
	v_dual_mov_b32 v2, v11 :: v_dual_mov_b32 v11, v15
	s_delay_alu instid0(VALU_DEP_1) | instskip(SKIP_1) | instid1(VALU_DEP_1)
	v_mad_co_u64_u32 v[15:16], null, s7, v16, v[2:3]
	v_lshrrev_b32_e32 v2, 16, v3
	v_mul_f16_e32 v16, v53, v2
	s_wait_alu 0xfffe
	v_mul_f64_e32 v[4:5], s[8:9], v[4:5]
	s_delay_alu instid0(VALU_DEP_2) | instskip(SKIP_3) | instid1(VALU_DEP_4)
	v_fmac_f16_e32 v16, v52, v3
	v_mul_f64_e32 v[6:7], s[8:9], v[6:7]
	v_mul_f16_e32 v3, v53, v3
	v_mul_f64_e32 v[0:1], s[8:9], v[0:1]
	v_cvt_f32_f16_e32 v16, v16
	v_mul_f64_e32 v[8:9], s[8:9], v[8:9]
	v_mad_co_u64_u32 v[19:20], null, s5, v54, v[11:12]
	v_mov_b32_e32 v11, v15
	s_delay_alu instid0(VALU_DEP_1)
	v_lshlrev_b64_e32 v[10:11], 2, v[10:11]
	v_and_or_b32 v4, 0x1ff, v5, v4
	v_and_or_b32 v6, 0x1ff, v7, v6
	v_bfe_u32 v21, v7, 20, 11
	v_and_or_b32 v0, 0x1ff, v1, v0
	v_bfe_u32 v23, v1, 20, 11
	v_lshrrev_b32_e32 v22, 8, v1
	v_lshrrev_b32_e32 v1, 16, v1
	v_sub_nc_u32_e32 v27, 0x3f1, v21
	v_bfe_u32 v26, v9, 20, 11
	v_mov_b32_e32 v15, v19
	v_add_co_u32 v19, vcc_lo, s2, v10
	s_wait_alu 0xfffd
	v_add_co_ci_u32_e32 v20, vcc_lo, s3, v11, vcc_lo
	v_mul_f64_e32 v[10:11], s[8:9], v[12:13]
	v_lshlrev_b64_e32 v[14:15], 2, v[14:15]
	v_and_or_b32 v8, 0x1ff, v9, v8
	v_sub_nc_u32_e32 v28, 0x3f1, v23
	v_lshrrev_b32_e32 v25, 8, v9
	v_add_nc_u32_e32 v23, 0xfffffc10, v23
	v_add_co_u32 v12, vcc_lo, v19, v14
	s_wait_alu 0xfffd
	v_add_co_ci_u32_e32 v13, vcc_lo, v20, v15, vcc_lo
	v_cmp_ne_u32_e32 vcc_lo, 0, v4
	v_cvt_f64_f32_e32 v[14:15], v16
	v_mul_f64_e32 v[16:17], s[8:9], v[17:18]
	v_lshrrev_b32_e32 v18, 8, v5
	v_bfe_u32 v19, v5, 20, 11
	s_wait_alu 0xfffd
	v_cndmask_b32_e64 v4, 0, 1, vcc_lo
	v_cmp_ne_u32_e32 vcc_lo, 0, v6
	v_lshrrev_b32_e32 v20, 8, v7
	v_lshrrev_b32_e32 v5, 16, v5
	v_sub_nc_u32_e32 v24, 0x3f1, v19
	v_and_or_b32 v4, 0xffe, v18, v4
	s_wait_alu 0xfffd
	v_cndmask_b32_e64 v6, 0, 1, vcc_lo
	v_cmp_ne_u32_e32 vcc_lo, 0, v0
	v_add_nc_u32_e32 v19, 0xfffffc10, v19
	v_med3_i32 v18, v24, 0, 13
	v_sub_nc_u32_e32 v24, 0x3f1, v26
	v_and_or_b32 v6, 0xffe, v20, v6
	s_wait_alu 0xfffd
	v_cndmask_b32_e64 v0, 0, 1, vcc_lo
	v_cmp_ne_u32_e32 vcc_lo, 0, v8
	v_lshl_or_b32 v30, v19, 12, v4
	v_med3_i32 v20, v27, 0, 13
	v_add_nc_u32_e32 v26, 0xfffffc10, v26
	v_and_or_b32 v0, 0xffe, v22, v0
	s_wait_alu 0xfffd
	v_cndmask_b32_e64 v8, 0, 1, vcc_lo
	v_cmp_ne_u32_e32 vcc_lo, 0, v4
	v_med3_i32 v22, v28, 0, 13
	v_or_b32_e32 v28, 0x1000, v4
	v_and_or_b32 v10, 0x1ff, v11, v10
	v_lshrrev_b32_e32 v27, 8, v11
	s_wait_alu 0xfffd
	v_cndmask_b32_e64 v4, 0, 1, vcc_lo
	v_and_or_b32 v8, 0xffe, v25, v8
	v_or_b32_e32 v32, 0x1000, v0
	v_cmp_ne_u32_e32 vcc_lo, 0, v10
	v_lshrrev_b32_e32 v34, v18, v28
	v_or_b32_e32 v25, 0x1000, v6
	v_lshl_or_b32 v33, v23, 12, v0
	v_med3_i32 v24, v24, 0, 13
	s_wait_alu 0xfffd
	v_cndmask_b32_e64 v10, 0, 1, vcc_lo
	v_cmp_ne_u32_e32 vcc_lo, 0, v0
	v_lshlrev_b32_e32 v18, v18, v34
	v_or_b32_e32 v35, 0x1000, v8
	v_lshl_or_b32 v36, v26, 12, v8
	v_and_or_b32 v10, 0xffe, v27, v10
	s_wait_alu 0xfffd
	v_cndmask_b32_e64 v0, 0, 1, vcc_lo
	v_cmp_ne_u32_e32 vcc_lo, 0, v8
	v_lshrrev_b32_e32 v27, v22, v32
	v_lshrrev_b32_e32 v54, v20, v25
	v_lshrrev_b32_e32 v55, v24, v35
	v_lshl_or_b32 v0, v0, 9, 0x7c00
	s_wait_alu 0xfffd
	v_cndmask_b32_e64 v8, 0, 1, vcc_lo
	v_lshlrev_b32_e32 v22, v22, v27
	v_cmp_ne_u32_e32 vcc_lo, v18, v28
	v_lshlrev_b32_e32 v20, v20, v54
	v_lshlrev_b32_e32 v24, v24, v55
	v_lshl_or_b32 v4, v4, 9, 0x7c00
	v_bfe_u32 v29, v11, 20, 11
	s_wait_alu 0xfffd
	v_cndmask_b32_e64 v18, 0, 1, vcc_lo
	v_cmp_ne_u32_e32 vcc_lo, v22, v32
	v_lshl_or_b32 v8, v8, 9, 0x7c00
	v_lshrrev_b32_e32 v7, 16, v7
	v_lshrrev_b32_e32 v11, 16, v11
	v_or_b32_e32 v18, v34, v18
	s_wait_alu 0xfffd
	v_cndmask_b32_e64 v22, 0, 1, vcc_lo
	v_cmp_ne_u32_e32 vcc_lo, v20, v25
	s_delay_alu instid0(VALU_DEP_2) | instskip(SKIP_3) | instid1(VALU_DEP_2)
	v_or_b32_e32 v22, v27, v22
	s_wait_alu 0xfffd
	v_cndmask_b32_e64 v20, 0, 1, vcc_lo
	v_cmp_ne_u32_e32 vcc_lo, v24, v35
	v_or_b32_e32 v20, v54, v20
	s_wait_alu 0xfffd
	v_cndmask_b32_e64 v24, 0, 1, vcc_lo
	v_cmp_gt_i32_e32 vcc_lo, 1, v19
	s_delay_alu instid0(VALU_DEP_2)
	v_or_b32_e32 v24, v55, v24
	s_wait_alu 0xfffd
	v_cndmask_b32_e32 v18, v30, v18, vcc_lo
	v_cmp_gt_i32_e32 vcc_lo, 1, v23
	s_wait_alu 0xfffd
	v_dual_cndmask_b32 v22, v33, v22 :: v_dual_add_nc_u32 v21, 0xfffffc10, v21
	s_delay_alu instid0(VALU_DEP_1) | instskip(SKIP_1) | instid1(VALU_DEP_3)
	v_lshl_or_b32 v31, v21, 12, v6
	v_cmp_gt_i32_e32 vcc_lo, 1, v21
	v_and_b32_e32 v27, 7, v22
	v_lshrrev_b32_e32 v22, 2, v22
	s_wait_alu 0xfffd
	v_cndmask_b32_e32 v20, v31, v20, vcc_lo
	v_cmp_gt_i32_e32 vcc_lo, 1, v26
	v_and_b32_e32 v25, 7, v18
	v_cmp_eq_u32_e64 s0, 3, v27
	v_lshrrev_b32_e32 v18, 2, v18
	v_and_b32_e32 v28, 7, v20
	s_wait_alu 0xfffd
	v_cndmask_b32_e32 v24, v36, v24, vcc_lo
	v_cmp_lt_i32_e32 vcc_lo, 5, v27
	v_cmp_lt_i32_e64 s1, 5, v25
	v_cmp_eq_u32_e64 s2, 3, v25
	s_or_b32 vcc_lo, s0, vcc_lo
	v_cmp_gt_i32_e64 s0, 31, v19
	s_wait_alu 0xfffe
	v_add_co_ci_u32_e32 v22, vcc_lo, 0, v22, vcc_lo
	s_or_b32 vcc_lo, s2, s1
	v_cmp_eq_u32_e64 s1, 0x40f, v19
	s_wait_alu 0xfffe
	v_add_co_ci_u32_e32 v18, vcc_lo, 0, v18, vcc_lo
	v_cmp_gt_i32_e32 vcc_lo, 31, v23
	v_and_b32_e32 v25, 7, v24
	v_lshrrev_b32_e32 v19, 8, v17
	s_delay_alu instid0(VALU_DEP_4)
	v_cndmask_b32_e64 v18, 0x7c00, v18, s0
	v_cmp_eq_u32_e64 s0, 0x40f, v23
	s_wait_alu 0xfffd
	v_cndmask_b32_e32 v22, 0x7c00, v22, vcc_lo
	v_cmp_lt_i32_e32 vcc_lo, 5, v25
	s_mul_u64 s[2:3], s[4:5], 0x268
	v_cndmask_b32_e64 v4, v18, v4, s1
	v_cmp_eq_u32_e64 s1, 0x40f, v26
	v_cndmask_b32_e64 v0, v22, v0, s0
	v_cmp_eq_u32_e64 s0, 3, v25
	v_lshrrev_b32_e32 v22, 2, v24
	v_and_or_b32 v4, 0x8000, v5, v4
	v_or_b32_e32 v5, 0x1000, v10
	v_and_or_b32 v0, 0x8000, v1, v0
	s_or_b32 vcc_lo, s0, vcc_lo
	v_cmp_gt_i32_e64 s0, 31, v26
	s_wait_alu 0xfffe
	v_add_co_ci_u32_e32 v1, vcc_lo, 0, v22, vcc_lo
	v_and_b32_e32 v0, 0xffff, v0
	v_cmp_lt_i32_e32 vcc_lo, 5, v28
	s_wait_alu 0xf1ff
	s_delay_alu instid0(VALU_DEP_3)
	v_cndmask_b32_e64 v1, 0x7c00, v1, s0
	v_cmp_eq_u32_e64 s0, 3, v28
	v_lshl_or_b32 v18, v4, 16, v0
	v_lshrrev_b32_e32 v4, 2, v20
	v_sub_nc_u32_e32 v0, 0x3f1, v29
	v_cndmask_b32_e64 v1, v1, v8, s1
	s_or_b32 vcc_lo, s0, vcc_lo
	v_lshrrev_b32_e32 v8, 16, v9
	s_wait_alu 0xfffe
	v_add_co_ci_u32_e32 v4, vcc_lo, 0, v4, vcc_lo
	v_med3_i32 v0, v0, 0, 13
	v_cmp_ne_u32_e32 vcc_lo, 0, v6
	v_and_or_b32 v8, 0x8000, v8, v1
	v_fma_f16 v1, v52, v2, -v3
	v_and_or_b32 v2, 0x1ff, v17, v16
	v_lshrrev_b32_e32 v9, v0, v5
	s_wait_alu 0xfffd
	v_cndmask_b32_e64 v6, 0, 1, vcc_lo
	v_cmp_gt_i32_e32 vcc_lo, 31, v21
	v_bfe_u32 v20, v17, 20, 11
	v_add_nc_u32_e32 v16, 0xfffffc10, v29
	v_lshlrev_b32_e32 v0, v0, v9
	v_lshl_or_b32 v6, v6, 9, 0x7c00
	s_wait_alu 0xfffd
	v_cndmask_b32_e32 v4, 0x7c00, v4, vcc_lo
	v_cmp_eq_u32_e32 vcc_lo, 0x40f, v21
	global_store_b32 v[12:13], v18, off
	v_and_b32_e32 v8, 0xffff, v8
	v_lshrrev_b32_e32 v17, 16, v17
	s_wait_alu 0xfffd
	v_cndmask_b32_e32 v6, v4, v6, vcc_lo
	v_cmp_ne_u32_e32 vcc_lo, v0, v5
	v_cvt_f32_f16_e32 v0, v1
	s_wait_alu 0xfffd
	v_cndmask_b32_e64 v4, 0, 1, vcc_lo
	v_cmp_ne_u32_e32 vcc_lo, 0, v2
	v_mul_f64_e32 v[2:3], s[8:9], v[14:15]
	v_add_nc_u32_e32 v15, 0x900, v37
	v_and_or_b32 v6, 0x8000, v7, v6
	v_cvt_f64_f32_e32 v[0:1], v0
	s_wait_alu 0xfffd
	v_cndmask_b32_e64 v5, 0, 1, vcc_lo
	v_or_b32_e32 v4, v9, v4
	v_lshl_or_b32 v9, v16, 12, v10
	v_cmp_gt_i32_e32 vcc_lo, 1, v16
	s_delay_alu instid0(VALU_DEP_4) | instskip(SKIP_3) | instid1(VALU_DEP_3)
	v_and_or_b32 v14, 0xffe, v19, v5
	v_sub_nc_u32_e32 v5, 0x3f1, v20
	s_wait_alu 0xfffd
	v_cndmask_b32_e32 v9, v9, v4, vcc_lo
	v_or_b32_e32 v19, 0x1000, v14
	s_delay_alu instid0(VALU_DEP_3) | instskip(SKIP_2) | instid1(VALU_DEP_1)
	v_med3_i32 v21, v5, 0, 13
	ds_load_2addr_b32 v[4:5], v15 offset0:40 offset1:194
	v_lshrrev_b32_e32 v7, v21, v19
	v_lshlrev_b32_e32 v18, v21, v7
	v_lshl_or_b32 v21, v6, 16, v8
	v_lshrrev_b32_e32 v6, 2, v9
	s_delay_alu instid0(VALU_DEP_3) | instskip(SKIP_1) | instid1(VALU_DEP_1)
	v_cmp_ne_u32_e64 s1, v18, v19
	s_wait_alu 0xf1ff
	v_cndmask_b32_e64 v8, 0, 1, s1
	v_cmp_eq_u32_e64 s1, 0x40f, v16
	v_and_or_b32 v2, 0x1ff, v3, v2
	v_lshrrev_b32_e32 v19, 8, v3
	s_delay_alu instid0(VALU_DEP_4)
	v_or_b32_e32 v7, v7, v8
	v_and_b32_e32 v15, 7, v9
	v_add_nc_u32_e32 v9, 0xfffffc10, v20
	v_mul_f64_e32 v[0:1], s[8:9], v[0:1]
	v_bfe_u32 v20, v3, 20, 11
	v_lshrrev_b32_e32 v3, 16, v3
	v_cmp_lt_i32_e32 vcc_lo, 5, v15
	v_cmp_eq_u32_e64 s0, 3, v15
	v_lshl_or_b32 v8, v9, 12, v14
	s_wait_dscnt 0x0
	v_lshrrev_b32_e32 v15, 16, v4
	s_delay_alu instid0(VALU_DEP_3)
	s_or_b32 vcc_lo, s0, vcc_lo
	s_wait_alu 0xfffe
	v_add_co_ci_u32_e32 v6, vcc_lo, 0, v6, vcc_lo
	v_cmp_ne_u32_e32 vcc_lo, 0, v10
	s_wait_alu 0xfffd
	v_cndmask_b32_e64 v10, 0, 1, vcc_lo
	v_cmp_gt_i32_e32 vcc_lo, 1, v9
	s_delay_alu instid0(VALU_DEP_2)
	v_lshl_or_b32 v10, v10, 9, 0x7c00
	s_wait_alu 0xfffd
	v_cndmask_b32_e32 v8, v8, v7, vcc_lo
	v_cmp_gt_i32_e32 vcc_lo, 31, v16
	v_mul_f16_e32 v7, v51, v15
	s_wait_alu 0xfffd
	v_cndmask_b32_e32 v18, 0x7c00, v6, vcc_lo
	v_cmp_ne_u32_e32 vcc_lo, 0, v2
	v_and_b32_e32 v6, 7, v8
	v_lshrrev_b32_e32 v8, 2, v8
	v_fmac_f16_e32 v7, v50, v4
	v_cndmask_b32_e64 v10, v18, v10, s1
	s_wait_alu 0xfffd
	v_cndmask_b32_e64 v2, 0, 1, vcc_lo
	v_cmp_lt_i32_e32 vcc_lo, 5, v6
	v_cmp_eq_u32_e64 s0, 3, v6
	v_mul_f16_e32 v4, v51, v4
	v_and_or_b32 v10, 0x8000, v11, v10
	v_and_or_b32 v2, 0xffe, v19, v2
	v_sub_nc_u32_e32 v19, 0x3f1, v20
	s_or_b32 vcc_lo, s0, vcc_lo
	v_and_or_b32 v0, 0x1ff, v1, v0
	s_wait_alu 0xfffe
	v_add_co_ci_u32_e32 v8, vcc_lo, 0, v8, vcc_lo
	v_or_b32_e32 v16, 0x1000, v2
	v_med3_i32 v18, v19, 0, 13
	v_cmp_ne_u32_e32 vcc_lo, 0, v14
	v_fma_f16 v4, v50, v15, -v4
	v_cvt_f32_f16_e32 v7, v7
	v_bfe_u32 v15, v1, 20, 11
	v_lshrrev_b32_e32 v19, v18, v16
	s_wait_alu 0xfffd
	v_cndmask_b32_e64 v14, 0, 1, vcc_lo
	v_cmp_gt_i32_e32 vcc_lo, 31, v9
	v_cvt_f32_f16_e32 v4, v4
	v_cvt_f64_f32_e32 v[6:7], v7
	v_lshlrev_b32_e32 v11, v18, v19
	v_lshl_or_b32 v14, v14, 9, 0x7c00
	s_wait_alu 0xfffd
	v_cndmask_b32_e32 v8, 0x7c00, v8, vcc_lo
	v_cmp_eq_u32_e32 vcc_lo, 0x40f, v9
	v_lshrrev_b32_e32 v9, 8, v1
	v_sub_nc_u32_e32 v18, 0x3f1, v15
	s_wait_alu 0xfffd
	v_cndmask_b32_e32 v14, v8, v14, vcc_lo
	v_cmp_ne_u32_e32 vcc_lo, v11, v16
	v_add_nc_u32_e32 v16, 0xfffffc10, v20
	v_med3_i32 v18, v18, 0, 13
	s_delay_alu instid0(VALU_DEP_4) | instskip(SKIP_3) | instid1(VALU_DEP_2)
	v_and_or_b32 v14, 0x8000, v17, v14
	s_wait_alu 0xfffd
	v_cndmask_b32_e64 v8, 0, 1, vcc_lo
	v_cmp_ne_u32_e32 vcc_lo, 0, v0
	v_or_b32_e32 v11, v19, v8
	s_wait_alu 0xfffd
	v_cndmask_b32_e64 v0, 0, 1, vcc_lo
	v_cmp_gt_i32_e32 vcc_lo, 1, v16
	s_delay_alu instid0(VALU_DEP_2) | instskip(SKIP_3) | instid1(VALU_DEP_4)
	v_and_or_b32 v0, 0xffe, v9, v0
	v_cvt_f64_f32_e32 v[8:9], v4
	v_lshl_or_b32 v4, v16, 12, v2
	v_and_b32_e32 v17, 0xffff, v10
	v_or_b32_e32 v19, 0x1000, v0
	s_wait_alu 0xfffd
	s_delay_alu instid0(VALU_DEP_3) | instskip(SKIP_1) | instid1(VALU_DEP_3)
	v_cndmask_b32_e32 v4, v4, v11, vcc_lo
	v_add_co_u32 v10, vcc_lo, v12, s2
	v_lshrrev_b32_e32 v20, v18, v19
	s_wait_alu 0xfffd
	v_add_co_ci_u32_e32 v11, vcc_lo, s3, v13, vcc_lo
	v_mul_f64_e32 v[6:7], s[8:9], v[6:7]
	v_lshl_or_b32 v17, v14, 16, v17
	v_and_b32_e32 v14, 7, v4
	v_lshlrev_b32_e32 v18, v18, v20
	v_add_co_u32 v12, vcc_lo, v10, s2
	s_wait_alu 0xfffd
	v_add_co_ci_u32_e32 v13, vcc_lo, s3, v11, vcc_lo
	v_cmp_lt_i32_e32 vcc_lo, 5, v14
	v_cmp_eq_u32_e64 s0, 3, v14
	v_cmp_ne_u32_e64 s1, v18, v19
	v_lshrrev_b32_e32 v4, 2, v4
	v_lshrrev_b32_e32 v19, 16, v5
	v_add_nc_u32_e32 v18, 0xfffffc10, v15
	s_or_b32 vcc_lo, s0, vcc_lo
	v_cndmask_b32_e64 v14, 0, 1, s1
	s_wait_alu 0xfffe
	v_add_co_ci_u32_e32 v4, vcc_lo, 0, v4, vcc_lo
	v_cmp_ne_u32_e32 vcc_lo, 0, v2
	v_lshl_or_b32 v15, v18, 12, v0
	v_or_b32_e32 v14, v20, v14
	v_mul_f16_e32 v20, v49, v19
	s_wait_alu 0xfffd
	v_cndmask_b32_e64 v2, 0, 1, vcc_lo
	v_cmp_gt_i32_e32 vcc_lo, 1, v18
	v_mul_f64_e32 v[8:9], s[8:9], v[8:9]
	v_fmac_f16_e32 v20, v48, v5
	s_delay_alu instid0(VALU_DEP_4) | instskip(SKIP_1) | instid1(VALU_DEP_1)
	v_lshl_or_b32 v2, v2, 9, 0x7c00
	v_mul_f16_e32 v5, v49, v5
	v_fma_f16 v5, v48, v19, -v5
	v_and_or_b32 v6, 0x1ff, v7, v6
	v_bfe_u32 v24, v7, 20, 11
	s_delay_alu instid0(VALU_DEP_3)
	v_cvt_f32_f16_e32 v5, v5
	v_bfe_u32 v25, v9, 20, 11
	s_wait_alu 0xfffd
	v_cndmask_b32_e32 v22, v15, v14, vcc_lo
	v_cmp_gt_i32_e32 vcc_lo, 31, v16
	v_cvt_f32_f16_e32 v14, v20
	v_lshrrev_b32_e32 v20, 8, v7
	s_wait_alu 0xfffd
	v_dual_cndmask_b32 v4, 0x7c00, v4 :: v_dual_and_b32 v23, 7, v22
	v_cmp_ne_u32_e32 vcc_lo, 0, v6
	v_cvt_f64_f32_e32 v[14:15], v14
	s_delay_alu instid0(VALU_DEP_3) | instskip(SKIP_4) | instid1(VALU_DEP_3)
	v_cmp_eq_u32_e64 s0, 3, v23
	s_wait_alu 0xfffd
	v_cndmask_b32_e64 v6, 0, 1, vcc_lo
	v_cmp_eq_u32_e32 vcc_lo, 0x40f, v16
	v_lshrrev_b32_e32 v16, 2, v22
	v_and_or_b32 v6, 0xffe, v20, v6
	s_wait_alu 0xfffd
	v_cndmask_b32_e32 v2, v4, v2, vcc_lo
	v_cmp_lt_i32_e32 vcc_lo, 5, v23
	v_sub_nc_u32_e32 v4, 0x3f1, v24
	v_or_b32_e32 v20, 0x1000, v6
	s_delay_alu instid0(VALU_DEP_4) | instskip(SKIP_1) | instid1(VALU_DEP_3)
	v_and_or_b32 v22, 0x8000, v3, v2
	s_or_b32 vcc_lo, s0, vcc_lo
	v_med3_i32 v4, v4, 0, 13
	s_wait_alu 0xfffe
	v_add_co_ci_u32_e32 v16, vcc_lo, 0, v16, vcc_lo
	v_cmp_ne_u32_e32 vcc_lo, 0, v0
	v_cvt_f64_f32_e32 v[2:3], v5
	v_lshrrev_b32_e32 v19, v4, v20
	s_wait_alu 0xfffd
	v_cndmask_b32_e64 v0, 0, 1, vcc_lo
	v_cmp_gt_i32_e32 vcc_lo, 31, v18
	s_delay_alu instid0(VALU_DEP_3) | instskip(NEXT) | instid1(VALU_DEP_3)
	v_lshlrev_b32_e32 v4, v4, v19
	v_lshl_or_b32 v0, v0, 9, 0x7c00
	s_wait_alu 0xfffd
	v_cndmask_b32_e32 v16, 0x7c00, v16, vcc_lo
	v_cmp_eq_u32_e32 vcc_lo, 0x40f, v18
	v_lshrrev_b32_e32 v18, 16, v1
	s_wait_alu 0xfffd
	s_delay_alu instid0(VALU_DEP_3)
	v_cndmask_b32_e32 v16, v16, v0, vcc_lo
	v_and_or_b32 v0, 0x1ff, v9, v8
	v_cmp_ne_u32_e32 vcc_lo, v4, v20
	v_add_nc_u32_e32 v4, 0xe00, v37
	v_add_nc_u32_e32 v20, 0xfffffc10, v24
	v_lshrrev_b32_e32 v24, 8, v9
	v_lshrrev_b32_e32 v9, 16, v9
	s_wait_alu 0xfffd
	v_cndmask_b32_e64 v8, 0, 1, vcc_lo
	v_cmp_ne_u32_e32 vcc_lo, 0, v0
	v_mul_f64_e32 v[0:1], s[8:9], v[14:15]
	ds_load_2addr_b32 v[4:5], v4 offset0:28 offset1:182
	v_lshl_or_b32 v15, v20, 12, v6
	v_or_b32_e32 v8, v19, v8
	v_and_b32_e32 v19, 0xffff, v22
	s_wait_alu 0xfffd
	v_cndmask_b32_e64 v23, 0, 1, vcc_lo
	v_and_or_b32 v14, 0x8000, v18, v16
	v_sub_nc_u32_e32 v18, 0x3f1, v25
	v_cmp_gt_i32_e32 vcc_lo, 1, v20
	s_clause 0x1
	global_store_b32 v[10:11], v21, off
	global_store_b32 v[12:13], v17, off
	v_and_or_b32 v16, 0xffe, v24, v23
	v_lshl_or_b32 v14, v14, 16, v19
	v_med3_i32 v18, v18, 0, 13
	s_wait_alu 0xfffd
	v_cndmask_b32_e32 v8, v15, v8, vcc_lo
	v_add_co_u32 v10, vcc_lo, v12, s2
	v_or_b32_e32 v15, 0x1000, v16
	s_wait_alu 0xfffd
	v_add_co_ci_u32_e32 v11, vcc_lo, s3, v13, vcc_lo
	v_and_b32_e32 v17, 7, v8
	v_mul_f64_e32 v[2:3], s[8:9], v[2:3]
	v_lshrrev_b32_e32 v19, v18, v15
	s_wait_dscnt 0x0
	v_lshrrev_b32_e32 v21, 16, v4
	v_lshrrev_b32_e32 v8, 2, v8
	v_cmp_lt_i32_e32 vcc_lo, 5, v17
	v_cmp_eq_u32_e64 s0, 3, v17
	v_lshlrev_b32_e32 v12, v18, v19
	v_mul_f16_e32 v13, v47, v21
	global_store_b32 v[10:11], v14, off
	s_or_b32 vcc_lo, s0, vcc_lo
	v_cmp_ne_u32_e64 s1, v12, v15
	s_wait_alu 0xfffe
	v_add_co_ci_u32_e32 v8, vcc_lo, 0, v8, vcc_lo
	v_add_nc_u32_e32 v15, 0xfffffc10, v25
	v_cmp_ne_u32_e32 vcc_lo, 0, v6
	s_wait_alu 0xf1ff
	v_cndmask_b32_e64 v12, 0, 1, s1
	v_fmac_f16_e32 v13, v46, v4
	v_and_or_b32 v0, 0x1ff, v1, v0
	v_lshl_or_b32 v18, v15, 12, v16
	s_wait_alu 0xfffd
	v_cndmask_b32_e64 v6, 0, 1, vcc_lo
	v_or_b32_e32 v17, v19, v12
	v_cmp_gt_i32_e32 vcc_lo, 1, v15
	v_cvt_f32_f16_e32 v12, v13
	v_bfe_u32 v19, v1, 20, 11
	v_lshl_or_b32 v6, v6, 9, 0x7c00
	v_mul_f16_e32 v4, v47, v4
	s_wait_alu 0xfffd
	v_cndmask_b32_e32 v17, v18, v17, vcc_lo
	v_cmp_ne_u32_e32 vcc_lo, 0, v0
	v_cvt_f64_f32_e32 v[12:13], v12
	v_lshrrev_b32_e32 v18, 8, v1
	v_fma_f16 v4, v46, v21, -v4
	v_and_b32_e32 v22, 7, v17
	s_wait_alu 0xfffd
	v_cndmask_b32_e64 v0, 0, 1, vcc_lo
	v_cmp_gt_i32_e32 vcc_lo, 31, v20
	v_lshrrev_b32_e32 v1, 16, v1
	v_cvt_f32_f16_e32 v4, v4
	v_cmp_eq_u32_e64 s0, 3, v22
	v_and_or_b32 v0, 0xffe, v18, v0
	s_wait_alu 0xfffd
	v_cndmask_b32_e32 v8, 0x7c00, v8, vcc_lo
	v_sub_nc_u32_e32 v18, 0x3f1, v19
	v_cmp_eq_u32_e32 vcc_lo, 0x40f, v20
	v_lshrrev_b32_e32 v20, 16, v7
	v_lshrrev_b32_e32 v7, 2, v17
	v_and_or_b32 v2, 0x1ff, v3, v2
	v_med3_i32 v18, v18, 0, 13
	s_wait_alu 0xfffd
	v_cndmask_b32_e32 v8, v8, v6, vcc_lo
	v_or_b32_e32 v6, 0x1000, v0
	v_cmp_lt_i32_e32 vcc_lo, 5, v22
	v_bfe_u32 v21, v3, 20, 11
	v_add_nc_u32_e32 v19, 0xfffffc10, v19
	s_delay_alu instid0(VALU_DEP_4) | instskip(SKIP_3) | instid1(VALU_DEP_2)
	v_lshrrev_b32_e32 v17, v18, v6
	s_or_b32 vcc_lo, s0, vcc_lo
	s_wait_alu 0xfffe
	v_add_co_ci_u32_e32 v22, vcc_lo, 0, v7, vcc_lo
	v_lshlrev_b32_e32 v7, v18, v17
	v_cmp_ne_u32_e32 vcc_lo, 0, v2
	v_lshrrev_b32_e32 v18, 8, v3
	s_wait_alu 0xfffd
	v_cndmask_b32_e64 v2, 0, 1, vcc_lo
	v_cmp_ne_u32_e32 vcc_lo, v7, v6
	v_mul_f64_e32 v[6:7], s[8:9], v[12:13]
	s_delay_alu instid0(VALU_DEP_3)
	v_and_or_b32 v2, 0xffe, v18, v2
	s_wait_alu 0xfffd
	v_cndmask_b32_e64 v23, 0, 1, vcc_lo
	v_cmp_ne_u32_e32 vcc_lo, 0, v16
	v_sub_nc_u32_e32 v18, 0x3f1, v21
	v_cvt_f64_f32_e32 v[12:13], v4
	s_delay_alu instid0(VALU_DEP_4)
	v_or_b32_e32 v16, v17, v23
	s_wait_alu 0xfffd
	v_cndmask_b32_e64 v4, 0, 1, vcc_lo
	v_cmp_gt_i32_e32 vcc_lo, 31, v15
	v_lshl_or_b32 v17, v19, 12, v0
	v_or_b32_e32 v23, 0x1000, v2
	v_med3_i32 v18, v18, 0, 13
	v_lshl_or_b32 v4, v4, 9, 0x7c00
	s_wait_alu 0xfffd
	v_cndmask_b32_e32 v22, 0x7c00, v22, vcc_lo
	v_cmp_gt_i32_e32 vcc_lo, 1, v19
	s_wait_alu 0xfffd
	v_cndmask_b32_e32 v16, v17, v16, vcc_lo
	v_lshrrev_b32_e32 v17, v18, v23
	v_cmp_eq_u32_e32 vcc_lo, 0x40f, v15
	s_delay_alu instid0(VALU_DEP_3) | instskip(NEXT) | instid1(VALU_DEP_3)
	v_and_b32_e32 v15, 7, v16
	v_lshlrev_b32_e32 v18, v18, v17
	s_wait_alu 0xfffd
	v_cndmask_b32_e32 v4, v22, v4, vcc_lo
	v_and_or_b32 v8, 0x8000, v20, v8
	v_cmp_lt_i32_e32 vcc_lo, 5, v15
	v_cmp_ne_u32_e64 s0, v18, v23
	s_delay_alu instid0(VALU_DEP_4) | instskip(SKIP_2) | instid1(VALU_DEP_3)
	v_and_or_b32 v14, 0x8000, v9, v4
	v_add_nc_u32_e32 v18, 0xfffffc10, v21
	s_wait_alu 0xf1ff
	v_cndmask_b32_e64 v4, 0, 1, s0
	v_cmp_eq_u32_e64 s0, 3, v15
	v_and_b32_e32 v15, 0xffff, v8
	v_lshrrev_b32_e32 v8, 2, v16
	v_lshl_or_b32 v9, v18, 12, v2
	v_or_b32_e32 v4, v17, v4
	s_or_b32 vcc_lo, s0, vcc_lo
	v_and_or_b32 v6, 0x1ff, v7, v6
	s_wait_alu 0xfffe
	v_add_co_ci_u32_e32 v16, vcc_lo, 0, v8, vcc_lo
	v_cmp_ne_u32_e32 vcc_lo, 0, v0
	v_lshrrev_b32_e32 v17, 16, v5
	v_lshrrev_b32_e32 v20, 8, v7
	v_bfe_u32 v21, v7, 20, 11
	v_lshrrev_b32_e32 v7, 16, v7
	s_wait_alu 0xfffd
	v_cndmask_b32_e64 v0, 0, 1, vcc_lo
	v_cmp_gt_i32_e32 vcc_lo, 1, v18
	s_delay_alu instid0(VALU_DEP_2)
	v_lshl_or_b32 v0, v0, 9, 0x7c00
	s_wait_alu 0xfffd
	v_cndmask_b32_e32 v4, v9, v4, vcc_lo
	v_cmp_gt_i32_e32 vcc_lo, 31, v19
	v_mul_f64_e32 v[8:9], s[8:9], v[12:13]
	v_mul_f16_e32 v13, v45, v17
	s_wait_alu 0xfffd
	v_cndmask_b32_e32 v12, 0x7c00, v16, vcc_lo
	v_cmp_ne_u32_e32 vcc_lo, 0, v6
	s_delay_alu instid0(VALU_DEP_3)
	v_fmac_f16_e32 v13, v44, v5
	v_and_b32_e32 v16, 7, v4
	v_lshrrev_b32_e32 v4, 2, v4
	s_wait_alu 0xfffd
	v_cndmask_b32_e64 v6, 0, 1, vcc_lo
	v_cmp_eq_u32_e32 vcc_lo, 0x40f, v19
	v_cmp_eq_u32_e64 s0, 3, v16
	v_sub_nc_u32_e32 v19, 0x3f1, v21
	s_delay_alu instid0(VALU_DEP_4)
	v_and_or_b32 v6, 0xffe, v20, v6
	s_wait_alu 0xfffd
	v_cndmask_b32_e32 v0, v12, v0, vcc_lo
	v_cvt_f32_f16_e32 v12, v13
	v_cmp_lt_i32_e32 vcc_lo, 5, v16
	v_med3_i32 v19, v19, 0, 13
	v_or_b32_e32 v16, 0x1000, v6
	v_and_or_b32 v22, 0x8000, v1, v0
	v_cvt_f64_f32_e32 v[12:13], v12
	s_or_b32 vcc_lo, s0, vcc_lo
	v_mul_f16_e32 v0, v45, v5
	s_wait_alu 0xfffe
	v_add_co_ci_u32_e32 v4, vcc_lo, 0, v4, vcc_lo
	v_cmp_ne_u32_e32 vcc_lo, 0, v2
	v_lshrrev_b32_e32 v20, v19, v16
	v_fma_f16 v0, v44, v17, -v0
	v_add_nc_u32_e32 v5, 0x1200, v37
	s_wait_alu 0xfffd
	v_cndmask_b32_e64 v2, 0, 1, vcc_lo
	v_cmp_gt_i32_e32 vcc_lo, 31, v18
	v_lshlrev_b32_e32 v1, v19, v20
	v_cvt_f32_f16_e32 v0, v0
	v_lshrrev_b32_e32 v19, 16, v3
	v_lshl_or_b32 v2, v2, 9, 0x7c00
	s_wait_alu 0xfffd
	v_cndmask_b32_e32 v4, 0x7c00, v4, vcc_lo
	v_cmp_eq_u32_e32 vcc_lo, 0x40f, v18
	s_wait_alu 0xfffd
	s_delay_alu instid0(VALU_DEP_2)
	v_cndmask_b32_e32 v18, v4, v2, vcc_lo
	v_and_or_b32 v2, 0x1ff, v9, v8
	v_cmp_ne_u32_e32 vcc_lo, v1, v16
	v_cvt_f64_f32_e32 v[0:1], v0
	v_lshrrev_b32_e32 v4, 8, v9
	v_bfe_u32 v16, v9, 20, 11
	v_add_nc_u32_e32 v8, 0xfffffc10, v21
	s_wait_alu 0xfffd
	v_cndmask_b32_e64 v3, 0, 1, vcc_lo
	v_cmp_ne_u32_e32 vcc_lo, 0, v2
	v_sub_nc_u32_e32 v23, 0x3f1, v16
	v_add_nc_u32_e32 v16, 0xfffffc10, v16
	s_delay_alu instid0(VALU_DEP_4) | instskip(SKIP_4) | instid1(VALU_DEP_3)
	v_or_b32_e32 v17, v20, v3
	s_wait_alu 0xfffd
	v_cndmask_b32_e64 v2, 0, 1, vcc_lo
	v_lshl_or_b32 v20, v8, 12, v6
	v_cmp_gt_i32_e32 vcc_lo, 1, v8
	v_and_or_b32 v21, 0xffe, v4, v2
	ds_load_2addr_b32 v[2:3], v5 offset0:80 offset1:234
	v_mul_f64_e32 v[4:5], s[8:9], v[12:13]
	v_med3_i32 v13, v23, 0, 13
	s_wait_alu 0xfffd
	v_cndmask_b32_e32 v17, v20, v17, vcc_lo
	v_or_b32_e32 v12, 0x1000, v21
	v_lshl_or_b32 v20, v14, 16, v15
	v_and_or_b32 v14, 0x8000, v19, v18
	v_and_b32_e32 v15, 0xffff, v22
	v_and_b32_e32 v18, 7, v17
	v_lshrrev_b32_e32 v19, v13, v12
	v_add_co_u32 v10, vcc_lo, v10, s2
	s_wait_alu 0xfffd
	v_add_co_ci_u32_e32 v11, vcc_lo, s3, v11, vcc_lo
	s_delay_alu instid0(VALU_DEP_3)
	v_lshlrev_b32_e32 v13, v13, v19
	v_cmp_lt_i32_e32 vcc_lo, 5, v18
	v_cmp_eq_u32_e64 s0, 3, v18
	v_lshl_or_b32 v22, v14, 16, v15
	v_lshrrev_b32_e32 v14, 2, v17
	v_cmp_ne_u32_e64 s1, v13, v12
	s_wait_dscnt 0x0
	v_lshrrev_b32_e32 v18, 16, v2
	s_or_b32 vcc_lo, s0, vcc_lo
	v_lshl_or_b32 v15, v16, 12, v21
	s_wait_alu 0xfffe
	v_add_co_ci_u32_e32 v14, vcc_lo, 0, v14, vcc_lo
	v_cndmask_b32_e64 v12, 0, 1, s1
	v_mul_f16_e32 v13, v43, v18
	v_cmp_ne_u32_e32 vcc_lo, 0, v6
	v_mul_f64_e32 v[0:1], s[8:9], v[0:1]
	s_delay_alu instid0(VALU_DEP_4) | instskip(NEXT) | instid1(VALU_DEP_4)
	v_or_b32_e32 v12, v19, v12
	v_fmac_f16_e32 v13, v42, v2
	s_wait_alu 0xfffd
	v_cndmask_b32_e64 v6, 0, 1, vcc_lo
	v_cmp_gt_i32_e32 vcc_lo, 1, v16
	v_mul_f16_e32 v2, v43, v2
	s_delay_alu instid0(VALU_DEP_3)
	v_lshl_or_b32 v6, v6, 9, 0x7c00
	s_wait_alu 0xfffd
	v_cndmask_b32_e32 v17, v15, v12, vcc_lo
	v_cvt_f32_f16_e32 v12, v13
	v_cmp_gt_i32_e32 vcc_lo, 31, v8
	v_and_or_b32 v4, 0x1ff, v5, v4
	v_fma_f16 v2, v42, v18, -v2
	v_and_b32_e32 v23, 7, v17
	v_cvt_f64_f32_e32 v[12:13], v12
	s_wait_alu 0xfffd
	v_cndmask_b32_e32 v19, 0x7c00, v14, vcc_lo
	v_add_co_u32 v14, vcc_lo, v10, s2
	s_wait_alu 0xfffd
	v_add_co_ci_u32_e32 v15, vcc_lo, s3, v11, vcc_lo
	v_cmp_eq_u32_e32 vcc_lo, 0x40f, v8
	v_cmp_ne_u32_e64 s0, 0, v4
	v_lshrrev_b32_e32 v17, 2, v17
	v_lshrrev_b32_e32 v8, 8, v5
	v_cvt_f32_f16_e32 v2, v2
	s_wait_alu 0xfffd
	v_cndmask_b32_e32 v6, v19, v6, vcc_lo
	v_cmp_lt_i32_e32 vcc_lo, 5, v23
	s_wait_alu 0xf1ff
	v_cndmask_b32_e64 v4, 0, 1, s0
	v_cmp_eq_u32_e64 s0, 3, v23
	v_bfe_u32 v19, v5, 20, 11
	v_and_or_b32 v24, 0x8000, v7, v6
	global_store_b32 v[10:11], v20, off
	global_store_b32 v[14:15], v22, off
	v_and_or_b32 v4, 0xffe, v8, v4
	s_or_b32 vcc_lo, s0, vcc_lo
	v_sub_nc_u32_e32 v8, 0x3f1, v19
	s_wait_alu 0xfffe
	v_add_co_ci_u32_e32 v17, vcc_lo, 0, v17, vcc_lo
	v_cmp_ne_u32_e32 vcc_lo, 0, v21
	v_or_b32_e32 v23, 0x1000, v4
	v_med3_i32 v8, v8, 0, 13
	v_and_or_b32 v0, 0x1ff, v1, v0
	v_add_nc_u32_e32 v18, 0xfffffc10, v19
	s_wait_alu 0xfffd
	v_cndmask_b32_e64 v21, 0, 1, vcc_lo
	v_cmp_gt_i32_e32 vcc_lo, 31, v16
	v_lshrrev_b32_e32 v25, v8, v23
	v_lshrrev_b32_e32 v5, 16, v5
	v_cmp_eq_u32_e64 s1, 0x40f, v18
	v_lshl_or_b32 v21, v21, 9, 0x7c00
	s_wait_alu 0xfffd
	v_cndmask_b32_e32 v17, 0x7c00, v17, vcc_lo
	v_cmp_eq_u32_e32 vcc_lo, 0x40f, v16
	v_lshlrev_b32_e32 v8, v8, v25
	v_mul_f64_e32 v[6:7], s[8:9], v[12:13]
	v_lshl_or_b32 v13, v18, 12, v4
	s_wait_alu 0xfffd
	v_cndmask_b32_e32 v16, v17, v21, vcc_lo
	v_cmp_ne_u32_e32 vcc_lo, 0, v0
	v_lshrrev_b32_e32 v17, 16, v9
	v_lshrrev_b32_e32 v9, 8, v1
	v_bfe_u32 v21, v1, 20, 11
	v_lshrrev_b32_e32 v1, 16, v1
	s_wait_alu 0xfffd
	v_cndmask_b32_e64 v0, 0, 1, vcc_lo
	v_cmp_ne_u32_e32 vcc_lo, v8, v23
	s_delay_alu instid0(VALU_DEP_2)
	v_and_or_b32 v0, 0xffe, v9, v0
	s_wait_alu 0xfffd
	v_cndmask_b32_e64 v8, 0, 1, vcc_lo
	v_sub_nc_u32_e32 v9, 0x3f1, v21
	v_cmp_gt_i32_e32 vcc_lo, 1, v18
	v_or_b32_e32 v19, 0x1000, v0
	s_delay_alu instid0(VALU_DEP_4) | instskip(NEXT) | instid1(VALU_DEP_4)
	v_or_b32_e32 v12, v25, v8
	v_med3_i32 v23, v9, 0, 13
	v_cvt_f64_f32_e32 v[8:9], v2
	v_and_or_b32 v2, 0x8000, v17, v16
	v_and_b32_e32 v16, 0xffff, v24
	s_wait_alu 0xfffd
	v_cndmask_b32_e32 v12, v13, v12, vcc_lo
	v_lshrrev_b32_e32 v13, v23, v19
	v_add_co_u32 v10, vcc_lo, v14, s2
	v_lshl_or_b32 v16, v2, 16, v16
	s_delay_alu instid0(VALU_DEP_4) | instskip(NEXT) | instid1(VALU_DEP_4)
	v_and_b32_e32 v2, 7, v12
	v_lshlrev_b32_e32 v17, v23, v13
	v_lshrrev_b32_e32 v14, 16, v3
	s_wait_alu 0xfffd
	v_add_co_ci_u32_e32 v11, vcc_lo, s3, v15, vcc_lo
	v_cmp_lt_i32_e32 vcc_lo, 5, v2
	v_cmp_ne_u32_e64 s0, v17, v19
	v_add_nc_u32_e32 v17, 0xfffffc10, v21
	v_mul_f16_e32 v19, v41, v14
	v_and_or_b32 v6, 0x1ff, v7, v6
	v_lshrrev_b32_e32 v20, 8, v7
	s_wait_alu 0xf1ff
	v_cndmask_b32_e64 v15, 0, 1, s0
	v_cmp_eq_u32_e64 s0, 3, v2
	v_lshrrev_b32_e32 v2, 2, v12
	v_fmac_f16_e32 v19, v40, v3
	s_delay_alu instid0(VALU_DEP_4) | instskip(NEXT) | instid1(VALU_DEP_4)
	v_or_b32_e32 v12, v13, v15
	s_or_b32 vcc_lo, s0, vcc_lo
	v_lshl_or_b32 v13, v17, 12, v0
	s_wait_alu 0xfffe
	v_add_co_ci_u32_e32 v2, vcc_lo, 0, v2, vcc_lo
	v_cmp_gt_i32_e32 vcc_lo, 1, v17
	v_cvt_f32_f16_e32 v15, v19
	s_wait_alu 0xfffd
	v_cndmask_b32_e32 v19, v13, v12, vcc_lo
	v_cmp_ne_u32_e32 vcc_lo, 0, v6
	s_delay_alu instid0(VALU_DEP_3)
	v_cvt_f64_f32_e32 v[12:13], v15
	v_bfe_u32 v15, v7, 20, 11
	v_mul_f64_e32 v[8:9], s[8:9], v[8:9]
	v_and_b32_e32 v21, 7, v19
	s_wait_alu 0xfffd
	v_cndmask_b32_e64 v6, 0, 1, vcc_lo
	v_cmp_ne_u32_e32 vcc_lo, 0, v4
	v_lshrrev_b32_e32 v19, 2, v19
	v_cmp_eq_u32_e64 s0, 3, v21
	s_delay_alu instid0(VALU_DEP_4)
	v_and_or_b32 v6, 0xffe, v20, v6
	s_wait_alu 0xfffd
	v_cndmask_b32_e64 v4, 0, 1, vcc_lo
	v_cmp_gt_i32_e32 vcc_lo, 31, v18
	v_sub_nc_u32_e32 v20, 0x3f1, v15
	v_add_nc_u32_e32 v15, 0xfffffc10, v15
	v_or_b32_e32 v22, 0x1000, v6
	v_lshl_or_b32 v4, v4, 9, 0x7c00
	s_wait_alu 0xfffd
	v_cndmask_b32_e32 v2, 0x7c00, v2, vcc_lo
	v_cmp_lt_i32_e32 vcc_lo, 5, v21
	v_med3_i32 v20, v20, 0, 13
	s_delay_alu instid0(VALU_DEP_3) | instskip(SKIP_1) | instid1(VALU_DEP_2)
	v_cndmask_b32_e64 v2, v2, v4, s1
	s_or_b32 vcc_lo, s0, vcc_lo
	v_lshrrev_b32_e32 v4, v20, v22
	s_wait_alu 0xfffe
	v_add_co_ci_u32_e32 v18, vcc_lo, 0, v19, vcc_lo
	v_cmp_ne_u32_e32 vcc_lo, 0, v0
	v_and_or_b32 v5, 0x8000, v5, v2
	v_lshlrev_b32_e32 v19, v20, v4
	s_wait_alu 0xfffd
	v_cndmask_b32_e64 v0, 0, 1, vcc_lo
	v_cmp_gt_i32_e32 vcc_lo, 31, v17
	v_and_b32_e32 v5, 0xffff, v5
	s_delay_alu instid0(VALU_DEP_3)
	v_lshl_or_b32 v0, v0, 9, 0x7c00
	s_wait_alu 0xfffd
	v_cndmask_b32_e32 v18, 0x7c00, v18, vcc_lo
	v_cmp_ne_u32_e32 vcc_lo, v19, v22
	v_and_or_b32 v8, 0x1ff, v9, v8
	s_wait_alu 0xfffd
	v_cndmask_b32_e64 v2, 0, 1, vcc_lo
	v_cmp_eq_u32_e32 vcc_lo, 0x40f, v17
	ds_load_b32 v17, v37 offset:6160
	v_or_b32_e32 v4, v4, v2
	s_wait_alu 0xfffd
	v_cndmask_b32_e32 v0, v18, v0, vcc_lo
	v_mul_f16_e32 v18, v41, v3
	v_mul_f64_e32 v[2:3], s[8:9], v[12:13]
	v_lshl_or_b32 v12, v15, 12, v6
	v_cmp_gt_i32_e32 vcc_lo, 1, v15
	s_delay_alu instid0(VALU_DEP_4)
	v_fma_f16 v13, v40, v14, -v18
	v_bfe_u32 v14, v9, 20, 11
	v_and_or_b32 v18, 0x8000, v1, v0
	s_wait_alu 0xfffd
	v_cndmask_b32_e32 v4, v12, v4, vcc_lo
	v_cmp_ne_u32_e32 vcc_lo, 0, v8
	v_cvt_f32_f16_e32 v12, v13
	v_lshrrev_b32_e32 v13, 8, v9
	v_lshl_or_b32 v18, v18, 16, v5
	v_and_b32_e32 v19, 7, v4
	s_wait_alu 0xfffd
	v_cndmask_b32_e64 v8, 0, 1, vcc_lo
	v_cvt_f64_f32_e32 v[0:1], v12
	v_sub_nc_u32_e32 v12, 0x3f1, v14
	v_lshrrev_b32_e32 v4, 2, v4
	v_cmp_lt_i32_e32 vcc_lo, 5, v19
	v_and_or_b32 v8, 0xffe, v13, v8
	s_wait_dscnt 0x0
	v_lshrrev_b32_e32 v13, 16, v17
	v_cmp_eq_u32_e64 s0, 3, v19
	v_med3_i32 v12, v12, 0, 13
	v_add_nc_u32_e32 v14, 0xfffffc10, v14
	v_or_b32_e32 v20, 0x1000, v8
	v_mul_f16_e32 v21, v39, v13
	s_or_b32 vcc_lo, s0, vcc_lo
	s_wait_alu 0xfffe
	v_add_co_ci_u32_e32 v4, vcc_lo, 0, v4, vcc_lo
	v_lshrrev_b32_e32 v19, v12, v20
	v_fmac_f16_e32 v21, v38, v17
	v_cmp_ne_u32_e32 vcc_lo, 0, v6
	s_delay_alu instid0(VALU_DEP_3) | instskip(NEXT) | instid1(VALU_DEP_3)
	v_lshlrev_b32_e32 v6, v12, v19
	v_cvt_f32_f16_e32 v12, v21
	s_wait_alu 0xfffd
	v_cndmask_b32_e64 v5, 0, 1, vcc_lo
	v_cmp_gt_i32_e32 vcc_lo, 31, v15
	v_and_or_b32 v2, 0x1ff, v3, v2
	s_delay_alu instid0(VALU_DEP_3)
	v_lshl_or_b32 v22, v5, 9, 0x7c00
	s_wait_alu 0xfffd
	v_cndmask_b32_e32 v21, 0x7c00, v4, vcc_lo
	v_cvt_f64_f32_e32 v[4:5], v12
	v_cmp_ne_u32_e32 vcc_lo, v6, v20
	v_mul_f16_e32 v12, v39, v17
	v_lshrrev_b32_e32 v17, 8, v3
	s_wait_alu 0xfffd
	v_cndmask_b32_e64 v6, 0, 1, vcc_lo
	v_cmp_ne_u32_e32 vcc_lo, 0, v2
	v_fma_f16 v12, v38, v13, -v12
	v_lshl_or_b32 v13, v14, 12, v8
	v_mul_f64_e32 v[0:1], s[8:9], v[0:1]
	v_or_b32_e32 v6, v19, v6
	s_wait_alu 0xfffd
	v_cndmask_b32_e64 v2, 0, 1, vcc_lo
	v_bfe_u32 v19, v3, 20, 11
	v_cmp_gt_i32_e32 vcc_lo, 1, v14
	v_cvt_f32_f16_e32 v12, v12
	v_lshrrev_b32_e32 v3, 16, v3
	v_and_or_b32 v2, 0xffe, v17, v2
	v_sub_nc_u32_e32 v17, 0x3f1, v19
	s_wait_alu 0xfffd
	v_cndmask_b32_e32 v20, v13, v6, vcc_lo
	v_cmp_eq_u32_e32 vcc_lo, 0x40f, v15
	v_cvt_f64_f32_e32 v[12:13], v12
	v_or_b32_e32 v23, 0x1000, v2
	v_med3_i32 v17, v17, 0, 13
	v_add_nc_u32_e32 v19, 0xfffffc10, v19
	s_wait_alu 0xfffd
	v_dual_cndmask_b32 v15, v21, v22 :: v_dual_and_b32 v22, 7, v20
	v_add_co_u32 v6, vcc_lo, v10, s2
	v_lshrrev_b32_e32 v24, v17, v23
	v_lshrrev_b32_e32 v21, 16, v7
	s_wait_alu 0xfffd
	v_add_co_ci_u32_e32 v7, vcc_lo, s3, v11, vcc_lo
	v_cmp_lt_i32_e32 vcc_lo, 5, v22
	v_cmp_eq_u32_e64 s0, 3, v22
	v_lshrrev_b32_e32 v20, 2, v20
	v_lshlrev_b32_e32 v17, v17, v24
	v_and_or_b32 v15, 0x8000, v21, v15
	v_mul_f64_e32 v[4:5], s[8:9], v[4:5]
	s_or_b32 vcc_lo, s0, vcc_lo
	v_lshl_or_b32 v21, v19, 12, v2
	s_wait_alu 0xfffe
	v_add_co_ci_u32_e32 v20, vcc_lo, 0, v20, vcc_lo
	v_cmp_ne_u32_e64 s1, v17, v23
	v_cmp_ne_u32_e32 vcc_lo, 0, v8
	s_wait_alu 0xf1ff
	s_delay_alu instid0(VALU_DEP_2)
	v_cndmask_b32_e64 v17, 0, 1, s1
	s_wait_alu 0xfffd
	v_cndmask_b32_e64 v8, 0, 1, vcc_lo
	v_cmp_gt_i32_e32 vcc_lo, 31, v14
	v_and_or_b32 v0, 0x1ff, v1, v0
	v_lshrrev_b32_e32 v22, 8, v1
	v_or_b32_e32 v17, v24, v17
	v_lshl_or_b32 v8, v8, 9, 0x7c00
	s_wait_alu 0xfffd
	v_cndmask_b32_e32 v20, 0x7c00, v20, vcc_lo
	v_cmp_gt_i32_e32 vcc_lo, 1, v19
	s_wait_alu 0xfffd
	v_cndmask_b32_e32 v17, v21, v17, vcc_lo
	v_cmp_eq_u32_e32 vcc_lo, 0x40f, v14
	s_wait_alu 0xfffd
	s_delay_alu instid0(VALU_DEP_2)
	v_dual_cndmask_b32 v14, v20, v8 :: v_dual_and_b32 v21, 7, v17
	v_lshrrev_b32_e32 v20, 16, v9
	v_cmp_ne_u32_e32 vcc_lo, 0, v0
	v_mul_f64_e32 v[8:9], s[8:9], v[12:13]
	v_bfe_u32 v12, v1, 20, 11
	v_cmp_eq_u32_e64 s0, 3, v21
	v_and_or_b32 v13, 0x8000, v20, v14
	v_and_b32_e32 v14, 0xffff, v15
	s_wait_alu 0xfffd
	v_cndmask_b32_e64 v0, 0, 1, vcc_lo
	v_cmp_lt_i32_e32 vcc_lo, 5, v21
	v_sub_nc_u32_e32 v15, 0x3f1, v12
	v_and_or_b32 v4, 0x1ff, v5, v4
	v_lshl_or_b32 v13, v13, 16, v14
	v_lshrrev_b32_e32 v14, 2, v17
	v_and_or_b32 v0, 0xffe, v22, v0
	s_or_b32 vcc_lo, s0, vcc_lo
	v_med3_i32 v15, v15, 0, 13
	v_lshrrev_b32_e32 v21, 8, v5
	s_wait_alu 0xfffe
	v_add_co_ci_u32_e32 v14, vcc_lo, 0, v14, vcc_lo
	v_or_b32_e32 v17, 0x1000, v0
	v_cmp_ne_u32_e32 vcc_lo, 0, v2
	v_bfe_u32 v22, v5, 20, 11
	v_add_nc_u32_e32 v12, 0xfffffc10, v12
	v_lshrrev_b32_e32 v1, 16, v1
	v_lshrrev_b32_e32 v20, v15, v17
	s_wait_alu 0xfffd
	v_cndmask_b32_e64 v2, 0, 1, vcc_lo
	v_cmp_gt_i32_e32 vcc_lo, 31, v19
	v_lshrrev_b32_e32 v5, 16, v5
	v_lshlrev_b32_e32 v15, v15, v20
	s_delay_alu instid0(VALU_DEP_4)
	v_lshl_or_b32 v2, v2, 9, 0x7c00
	s_wait_alu 0xfffd
	v_cndmask_b32_e32 v14, 0x7c00, v14, vcc_lo
	v_cmp_ne_u32_e32 vcc_lo, 0, v4
	s_wait_alu 0xfffd
	v_cndmask_b32_e64 v4, 0, 1, vcc_lo
	v_cmp_ne_u32_e32 vcc_lo, v15, v17
	v_sub_nc_u32_e32 v17, 0x3f1, v22
	v_and_or_b32 v8, 0x1ff, v9, v8
	s_delay_alu instid0(VALU_DEP_4)
	v_and_or_b32 v4, 0xffe, v21, v4
	s_wait_alu 0xfffd
	v_cndmask_b32_e64 v15, 0, 1, vcc_lo
	v_cmp_eq_u32_e32 vcc_lo, 0x40f, v19
	v_med3_i32 v17, v17, 0, 13
	v_bfe_u32 v21, v9, 20, 11
	v_or_b32_e32 v19, 0x1000, v4
	s_wait_alu 0xfffd
	v_cndmask_b32_e32 v2, v14, v2, vcc_lo
	v_or_b32_e32 v14, v20, v15
	v_lshl_or_b32 v15, v12, 12, v0
	v_cmp_gt_i32_e32 vcc_lo, 1, v12
	v_lshrrev_b32_e32 v20, 8, v9
	v_and_or_b32 v2, 0x8000, v3, v2
	s_wait_alu 0xfffd
	v_cndmask_b32_e32 v14, v15, v14, vcc_lo
	v_lshrrev_b32_e32 v15, v17, v19
	v_cmp_ne_u32_e32 vcc_lo, 0, v8
	v_and_b32_e32 v2, 0xffff, v2
	s_delay_alu instid0(VALU_DEP_4) | instskip(NEXT) | instid1(VALU_DEP_4)
	v_and_b32_e32 v23, 7, v14
	v_lshlrev_b32_e32 v17, v17, v15
	s_wait_alu 0xfffd
	v_cndmask_b32_e64 v8, 0, 1, vcc_lo
	v_lshrrev_b32_e32 v14, 2, v14
	v_cmp_lt_i32_e32 vcc_lo, 5, v23
	v_cmp_ne_u32_e64 s0, v17, v19
	s_delay_alu instid0(VALU_DEP_4)
	v_and_or_b32 v3, 0xffe, v20, v8
	v_sub_nc_u32_e32 v8, 0x3f1, v21
	v_add_nc_u32_e32 v20, 0xfffffc10, v22
	s_wait_alu 0xf1ff
	v_cndmask_b32_e64 v17, 0, 1, s0
	v_cmp_eq_u32_e64 s0, 3, v23
	v_or_b32_e32 v19, 0x1000, v3
	v_med3_i32 v8, v8, 0, 13
	v_lshl_or_b32 v22, v20, 12, v4
	v_or_b32_e32 v15, v15, v17
	s_or_b32 vcc_lo, s0, vcc_lo
	s_wait_alu 0xfffe
	v_add_co_ci_u32_e32 v14, vcc_lo, 0, v14, vcc_lo
	v_lshrrev_b32_e32 v17, v8, v19
	v_cmp_gt_i32_e32 vcc_lo, 1, v20
	s_wait_alu 0xfffd
	s_delay_alu instid0(VALU_DEP_2) | instskip(SKIP_3) | instid1(VALU_DEP_3)
	v_dual_cndmask_b32 v15, v22, v15 :: v_dual_lshlrev_b32 v8, v8, v17
	v_cmp_ne_u32_e32 vcc_lo, 0, v0
	s_wait_alu 0xfffd
	v_cndmask_b32_e64 v0, 0, 1, vcc_lo
	v_cmp_ne_u32_e32 vcc_lo, v8, v19
	v_add_nc_u32_e32 v19, 0xfffffc10, v21
	v_and_b32_e32 v21, 7, v15
	s_delay_alu instid0(VALU_DEP_4)
	v_lshl_or_b32 v0, v0, 9, 0x7c00
	s_wait_alu 0xfffd
	v_cndmask_b32_e64 v8, 0, 1, vcc_lo
	v_cmp_gt_i32_e32 vcc_lo, 31, v12
	v_cmp_gt_i32_e64 s1, 1, v19
	v_cmp_eq_u32_e64 s0, 3, v21
	s_delay_alu instid0(VALU_DEP_4)
	v_or_b32_e32 v8, v17, v8
	v_lshl_or_b32 v17, v19, 12, v3
	s_wait_alu 0xfffd
	v_cndmask_b32_e32 v14, 0x7c00, v14, vcc_lo
	v_cmp_lt_i32_e32 vcc_lo, 5, v21
	s_wait_alu 0xf1ff
	v_cndmask_b32_e64 v8, v17, v8, s1
	v_cmp_eq_u32_e64 s1, 0x40f, v12
	v_lshrrev_b32_e32 v12, 2, v15
	s_or_b32 vcc_lo, s0, vcc_lo
	s_delay_alu instid0(VALU_DEP_2) | instskip(SKIP_1) | instid1(VALU_DEP_2)
	v_cndmask_b32_e64 v0, v14, v0, s1
	s_wait_alu 0xfffe
	v_add_co_ci_u32_e32 v12, vcc_lo, 0, v12, vcc_lo
	v_and_b32_e32 v14, 7, v8
	v_cmp_ne_u32_e32 vcc_lo, 0, v4
	v_lshrrev_b32_e32 v8, 2, v8
	v_cmp_gt_i32_e64 s1, 31, v20
	s_delay_alu instid0(VALU_DEP_4)
	v_cmp_eq_u32_e64 s0, 3, v14
	s_wait_alu 0xfffd
	v_cndmask_b32_e64 v4, 0, 1, vcc_lo
	v_cmp_lt_i32_e32 vcc_lo, 5, v14
	s_wait_alu 0xf1ff
	v_cndmask_b32_e64 v12, 0x7c00, v12, s1
	s_delay_alu instid0(VALU_DEP_3)
	v_lshl_or_b32 v4, v4, 9, 0x7c00
	s_or_b32 vcc_lo, s0, vcc_lo
	s_wait_alu 0xfffe
	v_add_co_ci_u32_e32 v8, vcc_lo, 0, v8, vcc_lo
	v_cmp_ne_u32_e32 vcc_lo, 0, v3
	s_wait_alu 0xfffd
	v_cndmask_b32_e64 v3, 0, 1, vcc_lo
	v_cmp_eq_u32_e32 vcc_lo, 0x40f, v20
	s_delay_alu instid0(VALU_DEP_2) | instskip(SKIP_4) | instid1(VALU_DEP_3)
	v_lshl_or_b32 v3, v3, 9, 0x7c00
	s_wait_alu 0xfffd
	v_cndmask_b32_e32 v4, v12, v4, vcc_lo
	v_cmp_gt_i32_e32 vcc_lo, 31, v19
	v_and_or_b32 v12, 0x8000, v1, v0
	v_and_or_b32 v4, 0x8000, v5, v4
	s_wait_alu 0xfffd
	v_cndmask_b32_e32 v8, 0x7c00, v8, vcc_lo
	v_cmp_eq_u32_e32 vcc_lo, 0x40f, v19
	v_lshrrev_b32_e32 v5, 16, v9
	s_wait_alu 0xfffd
	s_delay_alu instid0(VALU_DEP_3)
	v_dual_cndmask_b32 v3, v8, v3 :: v_dual_and_b32 v4, 0xffff, v4
	v_add_co_u32 v0, vcc_lo, v6, s2
	s_wait_alu 0xfffd
	v_add_co_ci_u32_e32 v1, vcc_lo, s3, v7, vcc_lo
	v_lshl_or_b32 v8, v12, 16, v2
	v_and_or_b32 v5, 0x8000, v5, v3
	v_add_co_u32 v2, vcc_lo, v0, s2
	s_wait_alu 0xfffd
	v_add_co_ci_u32_e32 v3, vcc_lo, s3, v1, vcc_lo
	s_delay_alu instid0(VALU_DEP_3) | instskip(NEXT) | instid1(VALU_DEP_3)
	v_lshl_or_b32 v9, v5, 16, v4
	v_add_co_u32 v4, vcc_lo, v2, s2
	s_wait_alu 0xfffd
	s_delay_alu instid0(VALU_DEP_3)
	v_add_co_ci_u32_e32 v5, vcc_lo, s3, v3, vcc_lo
	global_store_b32 v[10:11], v16, off
	global_store_b32 v[6:7], v18, off
	;; [unrolled: 1-line block ×5, first 2 shown]
.LBB0_18:
	s_nop 0
	s_sendmsg sendmsg(MSG_DEALLOC_VGPRS)
	s_endpgm
	.section	.rodata,"a",@progbits
	.p2align	6, 0x0
	.amdhsa_kernel bluestein_single_back_len1694_dim1_half_op_CI_CI
		.amdhsa_group_segment_fixed_size 6776
		.amdhsa_private_segment_fixed_size 0
		.amdhsa_kernarg_size 104
		.amdhsa_user_sgpr_count 2
		.amdhsa_user_sgpr_dispatch_ptr 0
		.amdhsa_user_sgpr_queue_ptr 0
		.amdhsa_user_sgpr_kernarg_segment_ptr 1
		.amdhsa_user_sgpr_dispatch_id 0
		.amdhsa_user_sgpr_private_segment_size 0
		.amdhsa_wavefront_size32 1
		.amdhsa_uses_dynamic_stack 0
		.amdhsa_enable_private_segment 0
		.amdhsa_system_sgpr_workgroup_id_x 1
		.amdhsa_system_sgpr_workgroup_id_y 0
		.amdhsa_system_sgpr_workgroup_id_z 0
		.amdhsa_system_sgpr_workgroup_info 0
		.amdhsa_system_vgpr_workitem_id 0
		.amdhsa_next_free_vgpr 199
		.amdhsa_next_free_sgpr 20
		.amdhsa_reserve_vcc 1
		.amdhsa_float_round_mode_32 0
		.amdhsa_float_round_mode_16_64 0
		.amdhsa_float_denorm_mode_32 3
		.amdhsa_float_denorm_mode_16_64 3
		.amdhsa_fp16_overflow 0
		.amdhsa_workgroup_processor_mode 1
		.amdhsa_memory_ordered 1
		.amdhsa_forward_progress 0
		.amdhsa_round_robin_scheduling 0
		.amdhsa_exception_fp_ieee_invalid_op 0
		.amdhsa_exception_fp_denorm_src 0
		.amdhsa_exception_fp_ieee_div_zero 0
		.amdhsa_exception_fp_ieee_overflow 0
		.amdhsa_exception_fp_ieee_underflow 0
		.amdhsa_exception_fp_ieee_inexact 0
		.amdhsa_exception_int_div_zero 0
	.end_amdhsa_kernel
	.text
.Lfunc_end0:
	.size	bluestein_single_back_len1694_dim1_half_op_CI_CI, .Lfunc_end0-bluestein_single_back_len1694_dim1_half_op_CI_CI
                                        ; -- End function
	.section	.AMDGPU.csdata,"",@progbits
; Kernel info:
; codeLenInByte = 25228
; NumSgprs: 22
; NumVgprs: 199
; ScratchSize: 0
; MemoryBound: 0
; FloatMode: 240
; IeeeMode: 1
; LDSByteSize: 6776 bytes/workgroup (compile time only)
; SGPRBlocks: 2
; VGPRBlocks: 24
; NumSGPRsForWavesPerEU: 22
; NumVGPRsForWavesPerEU: 199
; Occupancy: 7
; WaveLimiterHint : 1
; COMPUTE_PGM_RSRC2:SCRATCH_EN: 0
; COMPUTE_PGM_RSRC2:USER_SGPR: 2
; COMPUTE_PGM_RSRC2:TRAP_HANDLER: 0
; COMPUTE_PGM_RSRC2:TGID_X_EN: 1
; COMPUTE_PGM_RSRC2:TGID_Y_EN: 0
; COMPUTE_PGM_RSRC2:TGID_Z_EN: 0
; COMPUTE_PGM_RSRC2:TIDIG_COMP_CNT: 0
	.text
	.p2alignl 7, 3214868480
	.fill 96, 4, 3214868480
	.type	__hip_cuid_5efc582ba9b36d3a,@object ; @__hip_cuid_5efc582ba9b36d3a
	.section	.bss,"aw",@nobits
	.globl	__hip_cuid_5efc582ba9b36d3a
__hip_cuid_5efc582ba9b36d3a:
	.byte	0                               ; 0x0
	.size	__hip_cuid_5efc582ba9b36d3a, 1

	.ident	"AMD clang version 19.0.0git (https://github.com/RadeonOpenCompute/llvm-project roc-6.4.0 25133 c7fe45cf4b819c5991fe208aaa96edf142730f1d)"
	.section	".note.GNU-stack","",@progbits
	.addrsig
	.addrsig_sym __hip_cuid_5efc582ba9b36d3a
	.amdgpu_metadata
---
amdhsa.kernels:
  - .args:
      - .actual_access:  read_only
        .address_space:  global
        .offset:         0
        .size:           8
        .value_kind:     global_buffer
      - .actual_access:  read_only
        .address_space:  global
        .offset:         8
        .size:           8
        .value_kind:     global_buffer
      - .actual_access:  read_only
        .address_space:  global
        .offset:         16
        .size:           8
        .value_kind:     global_buffer
      - .actual_access:  read_only
        .address_space:  global
        .offset:         24
        .size:           8
        .value_kind:     global_buffer
      - .actual_access:  read_only
        .address_space:  global
        .offset:         32
        .size:           8
        .value_kind:     global_buffer
      - .offset:         40
        .size:           8
        .value_kind:     by_value
      - .address_space:  global
        .offset:         48
        .size:           8
        .value_kind:     global_buffer
      - .address_space:  global
        .offset:         56
        .size:           8
        .value_kind:     global_buffer
      - .address_space:  global
        .offset:         64
        .size:           8
        .value_kind:     global_buffer
      - .address_space:  global
        .offset:         72
        .size:           8
        .value_kind:     global_buffer
      - .offset:         80
        .size:           4
        .value_kind:     by_value
      - .address_space:  global
        .offset:         88
        .size:           8
        .value_kind:     global_buffer
      - .address_space:  global
        .offset:         96
        .size:           8
        .value_kind:     global_buffer
    .group_segment_fixed_size: 6776
    .kernarg_segment_align: 8
    .kernarg_segment_size: 104
    .language:       OpenCL C
    .language_version:
      - 2
      - 0
    .max_flat_workgroup_size: 154
    .name:           bluestein_single_back_len1694_dim1_half_op_CI_CI
    .private_segment_fixed_size: 0
    .sgpr_count:     22
    .sgpr_spill_count: 0
    .symbol:         bluestein_single_back_len1694_dim1_half_op_CI_CI.kd
    .uniform_work_group_size: 1
    .uses_dynamic_stack: false
    .vgpr_count:     199
    .vgpr_spill_count: 0
    .wavefront_size: 32
    .workgroup_processor_mode: 1
amdhsa.target:   amdgcn-amd-amdhsa--gfx1201
amdhsa.version:
  - 1
  - 2
...

	.end_amdgpu_metadata
